;; amdgpu-corpus repo=ROCm/rocFFT kind=compiled arch=gfx950 opt=O3
	.text
	.amdgcn_target "amdgcn-amd-amdhsa--gfx950"
	.amdhsa_code_object_version 6
	.protected	fft_rtc_back_len816_factors_17_2_3_2_2_2_wgs_51_tpt_51_halfLds_sp_ip_CI_sbrr_dirReg ; -- Begin function fft_rtc_back_len816_factors_17_2_3_2_2_2_wgs_51_tpt_51_halfLds_sp_ip_CI_sbrr_dirReg
	.globl	fft_rtc_back_len816_factors_17_2_3_2_2_2_wgs_51_tpt_51_halfLds_sp_ip_CI_sbrr_dirReg
	.p2align	8
	.type	fft_rtc_back_len816_factors_17_2_3_2_2_2_wgs_51_tpt_51_halfLds_sp_ip_CI_sbrr_dirReg,@function
fft_rtc_back_len816_factors_17_2_3_2_2_2_wgs_51_tpt_51_halfLds_sp_ip_CI_sbrr_dirReg: ; @fft_rtc_back_len816_factors_17_2_3_2_2_2_wgs_51_tpt_51_halfLds_sp_ip_CI_sbrr_dirReg
; %bb.0:
	s_load_dwordx2 s[12:13], s[0:1], 0x18
	s_load_dwordx4 s[4:7], s[0:1], 0x0
	s_load_dwordx2 s[10:11], s[0:1], 0x50
	v_mul_u32_u24_e32 v1, 0x506, v0
	v_add_u32_sdwa v6, s2, v1 dst_sel:DWORD dst_unused:UNUSED_PAD src0_sel:DWORD src1_sel:WORD_1
	s_waitcnt lgkmcnt(0)
	s_load_dwordx2 s[8:9], s[12:13], 0x0
	v_mov_b32_e32 v4, 0
	v_cmp_lt_u64_e64 s[2:3], s[6:7], 2
	v_mov_b32_e32 v7, v4
	s_and_b64 vcc, exec, s[2:3]
	v_mov_b64_e32 v[2:3], 0
	s_cbranch_vccnz .LBB0_8
; %bb.1:
	s_load_dwordx2 s[2:3], s[0:1], 0x10
	s_add_u32 s14, s12, 8
	s_addc_u32 s15, s13, 0
	s_mov_b64 s[16:17], 1
	v_mov_b64_e32 v[2:3], 0
	s_waitcnt lgkmcnt(0)
	s_add_u32 s18, s2, 8
	s_addc_u32 s19, s3, 0
.LBB0_2:                                ; =>This Inner Loop Header: Depth=1
	s_load_dwordx2 s[20:21], s[18:19], 0x0
                                        ; implicit-def: $vgpr8_vgpr9
	s_waitcnt lgkmcnt(0)
	v_or_b32_e32 v5, s21, v7
	v_cmp_ne_u64_e32 vcc, 0, v[4:5]
	s_and_saveexec_b64 s[2:3], vcc
	s_xor_b64 s[22:23], exec, s[2:3]
	s_cbranch_execz .LBB0_4
; %bb.3:                                ;   in Loop: Header=BB0_2 Depth=1
	v_cvt_f32_u32_e32 v1, s20
	v_cvt_f32_u32_e32 v5, s21
	s_sub_u32 s2, 0, s20
	s_subb_u32 s3, 0, s21
	v_fmac_f32_e32 v1, 0x4f800000, v5
	v_rcp_f32_e32 v1, v1
	s_nop 0
	v_mul_f32_e32 v1, 0x5f7ffffc, v1
	v_mul_f32_e32 v5, 0x2f800000, v1
	v_trunc_f32_e32 v5, v5
	v_fmac_f32_e32 v1, 0xcf800000, v5
	v_cvt_u32_f32_e32 v5, v5
	v_cvt_u32_f32_e32 v1, v1
	v_mul_lo_u32 v8, s2, v5
	v_mul_hi_u32 v10, s2, v1
	v_mul_lo_u32 v9, s3, v1
	v_add_u32_e32 v10, v10, v8
	v_mul_lo_u32 v12, s2, v1
	v_add_u32_e32 v13, v10, v9
	v_mul_hi_u32 v8, v1, v12
	v_mul_hi_u32 v11, v1, v13
	v_mul_lo_u32 v10, v1, v13
	v_mov_b32_e32 v9, v4
	v_lshl_add_u64 v[8:9], v[8:9], 0, v[10:11]
	v_mul_hi_u32 v11, v5, v12
	v_mul_lo_u32 v12, v5, v12
	v_add_co_u32_e32 v8, vcc, v8, v12
	v_mul_hi_u32 v10, v5, v13
	s_nop 0
	v_addc_co_u32_e32 v8, vcc, v9, v11, vcc
	v_mov_b32_e32 v9, v4
	s_nop 0
	v_addc_co_u32_e32 v11, vcc, 0, v10, vcc
	v_mul_lo_u32 v10, v5, v13
	v_lshl_add_u64 v[8:9], v[8:9], 0, v[10:11]
	v_add_co_u32_e32 v1, vcc, v1, v8
	v_mul_lo_u32 v10, s2, v1
	s_nop 0
	v_addc_co_u32_e32 v5, vcc, v5, v9, vcc
	v_mul_lo_u32 v8, s2, v5
	v_mul_hi_u32 v9, s2, v1
	v_add_u32_e32 v8, v9, v8
	v_mul_lo_u32 v9, s3, v1
	v_add_u32_e32 v12, v8, v9
	v_mul_hi_u32 v14, v5, v10
	v_mul_lo_u32 v15, v5, v10
	v_mul_hi_u32 v9, v1, v12
	v_mul_lo_u32 v8, v1, v12
	v_mul_hi_u32 v10, v1, v10
	v_mov_b32_e32 v11, v4
	v_lshl_add_u64 v[8:9], v[10:11], 0, v[8:9]
	v_add_co_u32_e32 v8, vcc, v8, v15
	v_mul_hi_u32 v13, v5, v12
	s_nop 0
	v_addc_co_u32_e32 v8, vcc, v9, v14, vcc
	v_mul_lo_u32 v10, v5, v12
	s_nop 0
	v_addc_co_u32_e32 v11, vcc, 0, v13, vcc
	v_mov_b32_e32 v9, v4
	v_lshl_add_u64 v[8:9], v[8:9], 0, v[10:11]
	v_add_co_u32_e32 v1, vcc, v1, v8
	v_mul_hi_u32 v10, v6, v1
	s_nop 0
	v_addc_co_u32_e32 v5, vcc, v5, v9, vcc
	v_mad_u64_u32 v[8:9], s[2:3], v6, v5, 0
	v_mov_b32_e32 v11, v4
	v_lshl_add_u64 v[8:9], v[10:11], 0, v[8:9]
	v_mad_u64_u32 v[12:13], s[2:3], v7, v1, 0
	v_add_co_u32_e32 v1, vcc, v8, v12
	v_mad_u64_u32 v[10:11], s[2:3], v7, v5, 0
	s_nop 0
	v_addc_co_u32_e32 v8, vcc, v9, v13, vcc
	v_mov_b32_e32 v9, v4
	s_nop 0
	v_addc_co_u32_e32 v11, vcc, 0, v11, vcc
	v_lshl_add_u64 v[8:9], v[8:9], 0, v[10:11]
	v_mul_lo_u32 v1, s21, v8
	v_mul_lo_u32 v5, s20, v9
	v_mad_u64_u32 v[10:11], s[2:3], s20, v8, 0
	v_add3_u32 v1, v11, v5, v1
	v_sub_u32_e32 v5, v7, v1
	v_mov_b32_e32 v11, s21
	v_sub_co_u32_e32 v14, vcc, v6, v10
	v_lshl_add_u64 v[12:13], v[8:9], 0, 1
	s_nop 0
	v_subb_co_u32_e64 v5, s[2:3], v5, v11, vcc
	v_subrev_co_u32_e64 v10, s[2:3], s20, v14
	v_subb_co_u32_e32 v1, vcc, v7, v1, vcc
	s_nop 0
	v_subbrev_co_u32_e64 v5, s[2:3], 0, v5, s[2:3]
	v_cmp_le_u32_e64 s[2:3], s21, v5
	v_cmp_le_u32_e32 vcc, s21, v1
	s_nop 0
	v_cndmask_b32_e64 v11, 0, -1, s[2:3]
	v_cmp_le_u32_e64 s[2:3], s20, v10
	s_nop 1
	v_cndmask_b32_e64 v10, 0, -1, s[2:3]
	v_cmp_eq_u32_e64 s[2:3], s21, v5
	s_nop 1
	v_cndmask_b32_e64 v5, v11, v10, s[2:3]
	v_lshl_add_u64 v[10:11], v[8:9], 0, 2
	v_cmp_ne_u32_e64 s[2:3], 0, v5
	s_nop 1
	v_cndmask_b32_e64 v5, v13, v11, s[2:3]
	v_cndmask_b32_e64 v11, 0, -1, vcc
	v_cmp_le_u32_e32 vcc, s20, v14
	s_nop 1
	v_cndmask_b32_e64 v13, 0, -1, vcc
	v_cmp_eq_u32_e32 vcc, s21, v1
	s_nop 1
	v_cndmask_b32_e32 v1, v11, v13, vcc
	v_cmp_ne_u32_e32 vcc, 0, v1
	v_cndmask_b32_e64 v1, v12, v10, s[2:3]
	s_nop 0
	v_cndmask_b32_e32 v9, v9, v5, vcc
	v_cndmask_b32_e32 v8, v8, v1, vcc
.LBB0_4:                                ;   in Loop: Header=BB0_2 Depth=1
	s_andn2_saveexec_b64 s[2:3], s[22:23]
	s_cbranch_execz .LBB0_6
; %bb.5:                                ;   in Loop: Header=BB0_2 Depth=1
	v_cvt_f32_u32_e32 v1, s20
	s_sub_i32 s22, 0, s20
	v_rcp_iflag_f32_e32 v1, v1
	s_nop 0
	v_mul_f32_e32 v1, 0x4f7ffffe, v1
	v_cvt_u32_f32_e32 v1, v1
	v_mul_lo_u32 v5, s22, v1
	v_mul_hi_u32 v5, v1, v5
	v_add_u32_e32 v1, v1, v5
	v_mul_hi_u32 v1, v6, v1
	v_mul_lo_u32 v5, v1, s20
	v_sub_u32_e32 v5, v6, v5
	v_add_u32_e32 v8, 1, v1
	v_subrev_u32_e32 v9, s20, v5
	v_cmp_le_u32_e32 vcc, s20, v5
	s_nop 1
	v_cndmask_b32_e32 v5, v5, v9, vcc
	v_cndmask_b32_e32 v1, v1, v8, vcc
	v_add_u32_e32 v8, 1, v1
	v_cmp_le_u32_e32 vcc, s20, v5
	v_mov_b32_e32 v9, v4
	s_nop 0
	v_cndmask_b32_e32 v8, v1, v8, vcc
.LBB0_6:                                ;   in Loop: Header=BB0_2 Depth=1
	s_or_b64 exec, exec, s[2:3]
	v_mad_u64_u32 v[10:11], s[2:3], v8, s20, 0
	s_load_dwordx2 s[2:3], s[14:15], 0x0
	v_mul_lo_u32 v1, v9, s20
	v_mul_lo_u32 v5, v8, s21
	v_add3_u32 v1, v11, v5, v1
	v_sub_co_u32_e32 v5, vcc, v6, v10
	s_add_u32 s16, s16, 1
	s_nop 0
	v_subb_co_u32_e32 v1, vcc, v7, v1, vcc
	s_addc_u32 s17, s17, 0
	s_waitcnt lgkmcnt(0)
	v_mul_lo_u32 v1, s2, v1
	v_mul_lo_u32 v6, s3, v5
	v_mad_u64_u32 v[2:3], s[2:3], s2, v5, v[2:3]
	s_add_u32 s14, s14, 8
	v_add3_u32 v3, v6, v3, v1
	s_addc_u32 s15, s15, 0
	v_mov_b64_e32 v[6:7], s[6:7]
	s_add_u32 s18, s18, 8
	v_cmp_ge_u64_e32 vcc, s[16:17], v[6:7]
	s_addc_u32 s19, s19, 0
	s_cbranch_vccnz .LBB0_9
; %bb.7:                                ;   in Loop: Header=BB0_2 Depth=1
	v_mov_b64_e32 v[6:7], v[8:9]
	s_branch .LBB0_2
.LBB0_8:
	v_mov_b64_e32 v[8:9], v[6:7]
.LBB0_9:
	s_lshl_b64 s[2:3], s[6:7], 3
	s_add_u32 s2, s12, s2
	s_addc_u32 s3, s13, s3
	s_load_dwordx2 s[6:7], s[2:3], 0x0
	s_load_dwordx2 s[12:13], s[0:1], 0x20
	v_mov_b32_e32 v59, 0
                                        ; implicit-def: $vgpr50
                                        ; implicit-def: $vgpr52
                                        ; implicit-def: $vgpr60
                                        ; implicit-def: $vgpr62
                                        ; implicit-def: $vgpr56
                                        ; implicit-def: $vgpr54
                                        ; implicit-def: $vgpr18
                                        ; implicit-def: $vgpr42
                                        ; implicit-def: $vgpr38
                                        ; implicit-def: $vgpr40
                                        ; implicit-def: $vgpr44
                                        ; implicit-def: $vgpr48
                                        ; implicit-def: $vgpr22
	s_waitcnt lgkmcnt(0)
	v_mad_u64_u32 v[4:5], s[0:1], s6, v8, v[2:3]
	v_mul_lo_u32 v1, s6, v9
	v_mul_lo_u32 v6, s7, v8
	s_mov_b32 s0, 0x5050506
	v_add3_u32 v5, v6, v5, v1
	v_mul_hi_u32 v1, v0, s0
	v_mul_u32_u24_e32 v1, 51, v1
	v_sub_u32_e32 v2, v0, v1
	v_cmp_gt_u64_e32 vcc, s[12:13], v[8:9]
	v_cmp_gt_u32_e64 s[0:1], 48, v2
	s_and_b64 s[6:7], vcc, s[0:1]
	v_mov_b32_e32 v9, 0
	v_lshl_add_u64 v[0:1], v[4:5], 3, s[10:11]
                                        ; implicit-def: $vgpr6
                                        ; implicit-def: $vgpr4
	s_and_saveexec_b64 s[2:3], s[6:7]
	s_cbranch_execz .LBB0_11
; %bb.10:
	v_mad_u64_u32 v[4:5], s[6:7], s8, v2, 0
	v_mov_b32_e32 v6, v5
	v_mad_u64_u32 v[6:7], s[6:7], s9, v2, v[6:7]
	v_add_u32_e32 v3, 48, v2
	v_mov_b32_e32 v5, v6
	v_mad_u64_u32 v[6:7], s[6:7], s8, v3, 0
	v_mov_b32_e32 v8, v7
	v_mad_u64_u32 v[8:9], s[6:7], s9, v3, v[8:9]
	v_mov_b32_e32 v7, v8
	v_add_u32_e32 v3, 0x60, v2
	v_lshl_add_u64 v[8:9], v[6:7], 3, v[0:1]
	v_mad_u64_u32 v[6:7], s[6:7], s8, v3, 0
	v_mov_b32_e32 v10, v7
	v_mad_u64_u32 v[10:11], s[6:7], s9, v3, v[10:11]
	v_mov_b32_e32 v7, v10
	v_add_u32_e32 v3, 0x90, v2
	v_lshl_add_u64 v[10:11], v[6:7], 3, v[0:1]
	v_mad_u64_u32 v[6:7], s[6:7], s8, v3, 0
	v_mov_b32_e32 v12, v7
	v_mad_u64_u32 v[12:13], s[6:7], s9, v3, v[12:13]
	v_lshl_add_u64 v[4:5], v[4:5], 3, v[0:1]
	v_mov_b32_e32 v7, v12
	v_or_b32_e32 v3, 0xc0, v2
	v_lshl_add_u64 v[12:13], v[6:7], 3, v[0:1]
	global_load_dwordx2 v[14:15], v[4:5], off
	global_load_dwordx2 v[6:7], v[8:9], off
	;; [unrolled: 1-line block ×4, first 2 shown]
	v_mad_u64_u32 v[4:5], s[6:7], s8, v3, 0
	v_mov_b32_e32 v8, v5
	v_mad_u64_u32 v[8:9], s[6:7], s9, v3, v[8:9]
	v_add_u32_e32 v3, 0xf0, v2
	v_mov_b32_e32 v5, v8
	v_mad_u64_u32 v[8:9], s[6:7], s8, v3, 0
	v_mov_b32_e32 v10, v9
	v_mad_u64_u32 v[10:11], s[6:7], s9, v3, v[10:11]
	v_add_u32_e32 v3, 0x120, v2
	v_mov_b32_e32 v9, v10
	;; [unrolled: 5-line block ×3, first 2 shown]
	v_mad_u64_u32 v[12:13], s[6:7], s8, v3, 0
	v_mov_b32_e32 v16, v13
	v_mad_u64_u32 v[16:17], s[6:7], s9, v3, v[16:17]
	v_lshl_add_u64 v[4:5], v[4:5], 3, v[0:1]
	v_mov_b32_e32 v13, v16
	v_or_b32_e32 v3, 0x180, v2
	v_lshl_add_u64 v[8:9], v[8:9], 3, v[0:1]
	v_lshl_add_u64 v[10:11], v[10:11], 3, v[0:1]
	;; [unrolled: 1-line block ×3, first 2 shown]
	global_load_dwordx2 v[60:61], v[4:5], off
	global_load_dwordx2 v[62:63], v[8:9], off
	;; [unrolled: 1-line block ×4, first 2 shown]
	v_mad_u64_u32 v[4:5], s[6:7], s8, v3, 0
	v_mov_b32_e32 v8, v5
	v_mad_u64_u32 v[8:9], s[6:7], s9, v3, v[8:9]
	v_mov_b32_e32 v5, v8
	v_add_u32_e32 v3, 0x1b0, v2
	v_lshl_add_u64 v[8:9], v[4:5], 3, v[0:1]
	v_mad_u64_u32 v[4:5], s[6:7], s8, v3, 0
	v_mov_b32_e32 v10, v5
	v_mad_u64_u32 v[10:11], s[6:7], s9, v3, v[10:11]
	v_mov_b32_e32 v5, v10
	v_add_u32_e32 v3, 0x1e0, v2
	v_lshl_add_u64 v[10:11], v[4:5], 3, v[0:1]
	;; [unrolled: 6-line block ×3, first 2 shown]
	v_mad_u64_u32 v[4:5], s[6:7], s8, v3, 0
	v_mov_b32_e32 v16, v5
	v_mad_u64_u32 v[16:17], s[6:7], s9, v3, v[16:17]
	v_mov_b32_e32 v5, v16
	v_or_b32_e32 v3, 0x240, v2
	v_lshl_add_u64 v[16:17], v[4:5], 3, v[0:1]
	global_load_dwordx2 v[18:19], v[8:9], off
	global_load_dwordx2 v[58:59], v[10:11], off
	;; [unrolled: 1-line block ×4, first 2 shown]
	v_mad_u64_u32 v[8:9], s[6:7], s8, v3, 0
	v_mov_b32_e32 v10, v9
	v_mad_u64_u32 v[10:11], s[6:7], s9, v3, v[10:11]
	v_add_u32_e32 v3, 0x270, v2
	v_mov_b32_e32 v9, v10
	v_mad_u64_u32 v[10:11], s[6:7], s8, v3, 0
	v_mov_b32_e32 v12, v11
	v_mad_u64_u32 v[12:13], s[6:7], s9, v3, v[12:13]
	v_add_u32_e32 v3, 0x2a0, v2
	v_mov_b32_e32 v11, v12
	;; [unrolled: 5-line block ×3, first 2 shown]
	v_mad_u64_u32 v[16:17], s[6:7], s8, v3, 0
	v_mov_b32_e32 v20, v17
	v_mad_u64_u32 v[20:21], s[6:7], s9, v3, v[20:21]
	v_lshl_add_u64 v[8:9], v[8:9], 3, v[0:1]
	v_mov_b32_e32 v17, v20
	v_or_b32_e32 v3, 0x300, v2
	v_lshl_add_u64 v[10:11], v[10:11], 3, v[0:1]
	v_lshl_add_u64 v[12:13], v[12:13], 3, v[0:1]
	;; [unrolled: 1-line block ×3, first 2 shown]
	global_load_dwordx2 v[42:43], v[8:9], off
	global_load_dwordx2 v[48:49], v[10:11], off
	;; [unrolled: 1-line block ×4, first 2 shown]
	v_mad_u64_u32 v[8:9], s[6:7], s8, v3, 0
	v_mov_b32_e32 v10, v9
	v_mad_u64_u32 v[10:11], s[6:7], s9, v3, v[10:11]
	v_mov_b32_e32 v9, v10
	v_lshl_add_u64 v[8:9], v[8:9], 3, v[0:1]
	global_load_dwordx2 v[40:41], v[8:9], off
	s_waitcnt vmcnt(16)
	v_mov_b32_e32 v9, v15
	s_waitcnt vmcnt(7)
	v_mov_b32_e32 v8, v59
	v_mov_b32_e32 v59, v14
.LBB0_11:
	s_or_b64 exec, exec, s[2:3]
	s_waitcnt vmcnt(0)
	v_pk_add_f32 v[26:27], v[6:7], v[40:41] neg_lo:[0,1] neg_hi:[0,1]
	v_pk_add_f32 v[64:65], v[6:7], v[40:41]
	s_mov_b32 s22, 0x3f6eb680
	v_mul_f32_e32 v72, 0xbeb8f4ab, v27
	v_pk_add_f32 v[28:29], v[50:51], v[44:45] neg_lo:[0,1] neg_hi:[0,1]
	v_fma_f32 v3, v64, s22, -v72
	v_pk_add_f32 v[10:11], v[50:51], v[44:45]
	s_mov_b32 s6, 0x3f3d2fb0
	v_mul_f32_e32 v73, 0xbf2c7751, v29
	v_add_f32_e32 v3, v59, v3
	s_mov_b32 s7, 0xbf2c7751
	v_fma_f32 v12, v10, s6, -v73
	v_pk_add_f32 v[30:31], v[52:53], v[38:39] neg_lo:[0,1] neg_hi:[0,1]
	v_add_f32_e32 v3, v3, v12
	v_pk_add_f32 v[12:13], v[52:53], v[38:39]
	s_mov_b32 s10, 0x3ee437d1
	v_mul_f32_e32 v74, 0xbf65296c, v31
	s_mov_b32 s11, 0xbf65296c
	v_fma_f32 v14, v12, s10, -v74
	v_pk_add_f32 v[32:33], v[60:61], v[48:49] neg_lo:[0,1] neg_hi:[0,1]
	v_add_f32_e32 v3, v14, v3
	v_pk_add_f32 v[14:15], v[60:61], v[48:49]
	s_mov_b32 s12, 0x3dbcf732
	v_mul_f32_e32 v75, 0xbf7ee86f, v33
	;; [unrolled: 7-line block ×3, first 2 shown]
	s_mov_b32 s15, 0xbf763a35
	v_fma_f32 v20, v16, s14, -v76
	v_pk_add_f32 v[46:47], v[56:57], v[22:23] neg_lo:[0,1] neg_hi:[0,1]
	v_add_f32_e32 v3, v20, v3
	s_mov_b32 s16, 0xbf1a4643
	v_mul_f32_e32 v77, 0xbf4c4adb, v47
	v_pk_add_f32 v[20:21], v[56:57], v[22:23]
	s_mov_b32 s17, 0xbf4c4adb
	v_fma_f32 v24, v20, s16, -v77
	v_pk_add_f32 v[34:35], v[54:55], v[4:5] neg_lo:[0,1] neg_hi:[0,1]
	v_add_f32_e32 v3, v3, v24
	s_mov_b32 s18, 0xbf59a7d5
	v_mul_f32_e32 v78, 0xbf06c442, v35
	v_pk_add_f32 v[24:25], v[54:55], v[4:5]
	s_mov_b32 s19, 0xbf06c442
	v_fma_f32 v66, v24, s18, -v78
	v_add_f32_e32 v3, v66, v3
	v_mov_b32_e32 v66, v19
	v_pk_add_f32 v[68:69], v[66:67], v[8:9] op_sel_hi:[0,1] neg_lo:[0,1] neg_hi:[0,1]
	s_mov_b32 s2, 0xbf7ba420
	v_mul_f32_e32 v79, 0xbe3c28d5, v68
	v_pk_add_f32 v[66:67], v[18:19], v[58:59]
	s_mov_b32 s3, 0xbe3c28d5
	v_fma_f32 v70, v66, s2, -v79
	v_add_f32_e32 v3, v3, v70
	s_mov_b32 s24, 0xbeb8f4ab
	s_and_saveexec_b64 s[20:21], s[0:1]
	s_cbranch_execz .LBB0_13
; %bb.12:
	s_mov_b32 s30, 0x3f763a35
	s_mov_b32 s34, s17
	;; [unrolled: 1-line block ×6, first 2 shown]
	v_pk_mul_f32 v[70:71], v[26:27], s[34:35] op_sel:[1,0]
	s_mov_b32 s28, s14
	s_mov_b32 s29, s10
	v_pk_fma_f32 v[80:81], v[64:65], s[26:27], v[70:71] op_sel_hi:[0,1,1] neg_lo:[0,0,1] neg_hi:[0,0,1]
	v_pk_mul_f32 v[82:83], v[28:29], s[30:31] op_sel:[1,0]
	v_pk_add_f32 v[80:81], v[58:59], v[80:81] op_sel:[1,0]
	v_pk_fma_f32 v[84:85], v[10:11], s[28:29], v[82:83] op_sel_hi:[0,1,1] neg_lo:[0,0,1] neg_hi:[0,0,1]
	s_mov_b32 s25, s13
	v_pk_add_f32 v[80:81], v[80:81], v[84:85]
	s_mov_b32 s23, s12
	v_pk_mul_f32 v[84:85], v[30:31], s[24:25] op_sel:[1,0]
	s_mov_b32 s55, 0x3f4c4adb
	v_pk_fma_f32 v[86:87], v[12:13], s[22:23], v[84:85] op_sel_hi:[0,1,1] neg_lo:[0,0,1] neg_hi:[0,0,1]
	s_mov_b32 s54, s19
	v_pk_add_f32 v[80:81], v[86:87], v[80:81]
	s_mov_b32 s34, s18
	s_mov_b32 s35, s16
	v_pk_mul_f32 v[86:87], v[32:33], s[54:55] op_sel:[1,0]
	s_mov_b32 s58, 0x3f7ee86f
	v_pk_fma_f32 v[88:89], v[14:15], s[34:35], v[86:87] op_sel_hi:[0,1,1] neg_lo:[0,0,1] neg_hi:[0,0,1]
	s_mov_b32 s59, s24
	v_pk_add_f32 v[80:81], v[80:81], v[88:89]
	s_mov_b32 s36, s12
	;; [unrolled: 7-line block ×5, first 2 shown]
	s_mov_b32 s43, s14
	v_pk_mul_f32 v[94:95], v[68:69], s[44:45] op_sel_hi:[0,1]
	v_pk_fma_f32 v[96:97], v[66:67], s[42:43], v[94:95] op_sel_hi:[0,1,1] neg_lo:[0,0,1] neg_hi:[0,0,1]
	s_movk_i32 s25, 0x44
	v_pk_add_f32 v[80:81], v[80:81], v[96:97]
	v_mad_u32_u24 v122, v2, s25, 0
	s_mov_b32 s50, s13
	s_mov_b32 s51, s15
	ds_write2_b32 v122, v81, v80 offset0:10 offset1:11
	s_mov_b32 s44, s12
	s_mov_b32 s45, s14
	;; [unrolled: 1-line block ×4, first 2 shown]
	v_pk_mul_f32 v[80:81], v[26:27], s[50:51] op_sel:[1,0]
	s_mov_b32 s46, s2
	s_mov_b32 s47, s18
	v_pk_fma_f32 v[96:97], v[64:65], s[44:45], v[80:81] op_sel_hi:[0,1,1] neg_lo:[0,0,1] neg_hi:[0,0,1]
	v_pk_mul_f32 v[98:99], v[28:29], s[68:69] op_sel:[1,0]
	v_pk_add_f32 v[96:97], v[58:59], v[96:97] op_sel:[1,0]
	v_pk_fma_f32 v[100:101], v[10:11], s[46:47], v[98:99] op_sel_hi:[0,1,1] neg_lo:[0,0,1] neg_hi:[0,0,1]
	s_mov_b32 s48, s30
	v_pk_add_f32 v[96:97], v[96:97], v[100:101]
	s_mov_b32 s50, s14
	s_mov_b32 s51, s6
	v_pk_mul_f32 v[100:101], v[30:31], s[48:49] op_sel:[1,0]
	s_mov_b32 s62, 0x3eb8f4ab
	v_pk_fma_f32 v[102:103], v[12:13], s[50:51], v[100:101] op_sel_hi:[0,1,1] neg_lo:[0,0,1] neg_hi:[0,0,1]
	s_mov_b32 s63, s11
	v_pk_add_f32 v[96:97], v[102:103], v[96:97]
	s_mov_b32 s52, s22
	s_mov_b32 s53, s10
	v_pk_mul_f32 v[102:103], v[32:33], s[62:63] op_sel:[1,0]
	s_mov_b32 s60, s11
	;; [unrolled: 7-line block ×5, first 2 shown]
	v_pk_fma_f32 v[110:111], v[24:25], s[66:67], v[108:109] op_sel_hi:[0,1,1] neg_lo:[0,0,1] neg_hi:[0,0,1]
	s_mov_b32 s55, s17
	v_pk_add_f32 v[96:97], v[110:111], v[96:97]
	s_mov_b32 s72, s6
	s_mov_b32 s73, s16
	v_pk_mul_f32 v[110:111], v[68:69], s[54:55] op_sel_hi:[0,1]
	v_pk_fma_f32 v[112:113], v[66:67], s[72:73], v[110:111] op_sel_hi:[0,1,1] neg_lo:[0,0,1] neg_hi:[0,0,1]
	v_pk_add_f32 v[96:97], v[96:97], v[112:113]
	v_mul_f32_e32 v113, 0x3f6eb680, v64
	v_mov_b32_e32 v112, v97
	v_mov_b32_e32 v97, v96
	ds_write2_b32 v122, v112, v96 offset0:12 offset1:13
	v_mov_b32_e32 v96, v59
	v_pk_add_f32 v[96:97], v[96:97], v[6:7]
	v_mov_b32_e32 v112, v18
	v_pk_add_f32 v[96:97], v[96:97], v[50:51]
	s_mov_b32 s64, s7
	v_pk_add_f32 v[96:97], v[96:97], v[52:53]
	s_mov_b32 s65, s11
	;; [unrolled: 2-line block ×5, first 2 shown]
	v_pk_add_f32 v[96:97], v[96:97], v[54:55]
	v_mul_f32_e32 v54, 0x3f3d2fb0, v10
	v_mov_b32_e32 v97, v72
	v_pk_add_f32 v[96:97], v[96:97], v[112:113]
	v_add_f32_e32 v73, v73, v54
	v_pk_add_f32 v[96:97], v[96:97], v[58:59]
	v_mov_b32_e32 v72, v4
	v_mul_f32_e32 v4, 0x3ee437d1, v12
	v_pk_add_f32 v[72:73], v[72:73], v[96:97]
	v_add_f32_e32 v97, v74, v4
	v_mov_b32_e32 v96, v22
	v_mul_f32_e32 v4, 0x3dbcf732, v14
	v_pk_add_f32 v[72:73], v[96:97], v[72:73]
	v_add_f32_e32 v75, v75, v4
	v_mov_b32_e32 v74, v42
	v_mul_f32_e32 v4, 0xbe8c1d8e, v16
	v_pk_add_f32 v[72:73], v[74:75], v[72:73]
	v_add_f32_e32 v75, v76, v4
	v_mov_b32_e32 v74, v48
	v_mul_f32_e32 v4, 0xbf1a4643, v20
	v_pk_add_f32 v[72:73], v[74:75], v[72:73]
	v_add_f32_e32 v75, v77, v4
	v_mov_b32_e32 v74, v38
	v_mul_f32_e32 v4, 0xbf59a7d5, v24
	v_pk_add_f32 v[72:73], v[74:75], v[72:73]
	v_add_f32_e32 v75, v78, v4
	v_mov_b32_e32 v74, v44
	v_mul_f32_e32 v4, 0xbf7ba420, v66
	v_pk_add_f32 v[72:73], v[74:75], v[72:73]
	v_add_f32_e32 v75, v79, v4
	v_mov_b32_e32 v74, v40
	v_pk_add_f32 v[72:73], v[74:75], v[72:73]
	ds_write2_b32 v122, v72, v73 offset1:1
	s_mov_b32 s71, s17
	v_pk_mul_f32 v[72:73], v[26:27], s[64:65] op_sel:[1,0]
	s_mov_b32 s58, s12
	s_mov_b32 s59, s16
	v_pk_fma_f32 v[74:75], v[64:65], s[54:55], v[72:73] op_sel_hi:[0,1,1]
	v_pk_mul_f32 v[76:77], v[28:29], s[70:71] op_sel:[1,0]
	v_pk_add_f32 v[74:75], v[58:59], v[74:75] op_sel:[1,0]
	v_pk_fma_f32 v[78:79], v[10:11], s[58:59], v[76:77] op_sel_hi:[0,1,1]
	s_mov_b32 s71, 0x3e3c28d5
	s_mov_b32 s70, s17
	v_pk_add_f32 v[74:75], v[74:75], v[78:79]
	s_mov_b32 s64, s16
	s_mov_b32 s65, s2
	v_pk_mul_f32 v[78:79], v[30:31], s[70:71] op_sel:[1,0]
	s_mov_b32 s74, s3
	v_pk_fma_f32 v[96:97], v[12:13], s[64:65], v[78:79] op_sel_hi:[0,1,1]
	s_mov_b32 s75, s30
	v_pk_add_f32 v[74:75], v[96:97], v[74:75]
	s_mov_b32 s70, s2
	s_mov_b32 s71, s14
	v_pk_mul_f32 v[96:97], v[32:33], s[74:75] op_sel:[1,0]
	s_mov_b32 s48, s69
	v_pk_fma_f32 v[112:113], v[14:15], s[70:71], v[96:97] op_sel_hi:[0,1,1]
	v_pk_add_f32 v[74:75], v[74:75], v[112:113]
	s_mov_b32 s74, s18
	s_mov_b32 s75, s6
	v_pk_mul_f32 v[112:113], v[36:37], s[48:49] op_sel:[1,0]
	s_mov_b32 s68, s30
	v_pk_fma_f32 v[114:115], v[16:17], s[74:75], v[112:113] op_sel_hi:[0,1,1]
	s_mov_b32 s69, s24
	v_pk_add_f32 v[74:75], v[114:115], v[74:75]
	s_mov_b32 s48, s14
	s_mov_b32 s49, s22
	v_pk_mul_f32 v[114:115], v[46:47], s[68:69] op_sel:[1,0]
	s_mov_b32 s30, s31
	v_pk_fma_f32 v[116:117], v[20:21], s[48:49], v[114:115] op_sel_hi:[0,1,1]
	s_mov_b32 s31, s13
	v_pk_add_f32 v[74:75], v[74:75], v[116:117]
	s_mov_b32 s24, s10
	s_mov_b32 s25, s12
	v_pk_mul_f32 v[116:117], v[34:35], s[30:31] op_sel:[1,0]
	s_mov_b32 s63, s19
	v_pk_fma_f32 v[118:119], v[24:25], s[24:25], v[116:117] op_sel_hi:[0,1,1]
	v_pk_add_f32 v[74:75], v[118:119], v[74:75]
	s_mov_b32 s30, s22
	s_mov_b32 s31, s18
	v_pk_mul_f32 v[118:119], v[68:69], s[62:63] op_sel_hi:[0,1]
	v_pk_fma_f32 v[120:121], v[66:67], s[30:31], v[118:119] op_sel_hi:[0,1,1]
	v_pk_add_f32 v[74:75], v[74:75], v[120:121]
	ds_write2_b32 v122, v74, v75 offset0:2 offset1:3
	v_pk_fma_f32 v[74:75], v[64:65], s[44:45], v[80:81] op_sel_hi:[0,1,1]
	v_pk_add_f32 v[74:75], v[58:59], v[74:75] op_sel:[1,0]
	v_pk_fma_f32 v[80:81], v[10:11], s[46:47], v[98:99] op_sel_hi:[0,1,1]
	v_pk_add_f32 v[74:75], v[74:75], v[80:81]
	v_pk_fma_f32 v[80:81], v[12:13], s[50:51], v[100:101] op_sel_hi:[0,1,1]
	v_pk_add_f32 v[74:75], v[80:81], v[74:75]
	;; [unrolled: 2-line block ×7, first 2 shown]
	v_pk_fma_f32 v[70:71], v[64:65], s[26:27], v[70:71] op_sel_hi:[0,1,1]
	ds_write2_b32 v122, v74, v75 offset0:4 offset1:5
	v_pk_add_f32 v[70:71], v[58:59], v[70:71] op_sel:[1,0]
	v_pk_fma_f32 v[74:75], v[10:11], s[28:29], v[82:83] op_sel_hi:[0,1,1]
	v_pk_add_f32 v[70:71], v[70:71], v[74:75]
	v_pk_fma_f32 v[74:75], v[12:13], s[22:23], v[84:85] op_sel_hi:[0,1,1]
	v_pk_add_f32 v[70:71], v[74:75], v[70:71]
	;; [unrolled: 2-line block ×7, first 2 shown]
	v_mul_f32_e32 v4, 0xbf7ba420, v64
	v_mul_f32_e32 v22, 0xbe3c28d5, v27
	ds_write2_b32 v122, v70, v71 offset0:6 offset1:7
	v_pk_add_f32 v[70:71], v[4:5], v[22:23]
	v_pk_add_f32 v[74:75], v[4:5], v[22:23] neg_lo:[0,1] neg_hi:[0,1]
	v_mul_f32_e32 v4, 0x3f6eb680, v10
	v_mul_f32_e32 v22, 0x3eb8f4ab, v29
	v_mov_b32_e32 v71, v74
	v_pk_add_f32 v[74:75], v[4:5], v[22:23]
	v_pk_add_f32 v[80:81], v[4:5], v[22:23] neg_lo:[0,1] neg_hi:[0,1]
	v_pk_add_f32 v[70:71], v[58:59], v[70:71] op_sel:[1,0]
	v_mov_b32_e32 v75, v80
	v_mul_f32_e32 v4, 0xbf59a7d5, v12
	v_mul_f32_e32 v22, 0xbf06c442, v31
	v_pk_add_f32 v[70:71], v[70:71], v[74:75]
	v_pk_add_f32 v[74:75], v[4:5], v[22:23]
	v_pk_add_f32 v[80:81], v[4:5], v[22:23] neg_lo:[0,1] neg_hi:[0,1]
	v_mul_f32_e32 v4, 0x3f3d2fb0, v14
	v_mov_b32_e32 v75, v80
	v_mul_f32_e32 v22, 0x3f2c7751, v33
	v_pk_add_f32 v[70:71], v[74:75], v[70:71]
	v_pk_add_f32 v[74:75], v[4:5], v[22:23]
	v_pk_add_f32 v[80:81], v[4:5], v[22:23] neg_lo:[0,1] neg_hi:[0,1]
	v_mul_f32_e32 v4, 0xbf1a4643, v16
	v_mov_b32_e32 v75, v80
	v_mul_f32_e32 v22, 0xbf4c4adb, v37
	v_pk_add_f32 v[70:71], v[70:71], v[74:75]
	v_pk_add_f32 v[74:75], v[4:5], v[22:23]
	v_pk_add_f32 v[80:81], v[4:5], v[22:23] neg_lo:[0,1] neg_hi:[0,1]
	v_mul_f32_e32 v4, 0x3ee437d1, v20
	v_mov_b32_e32 v75, v80
	v_mul_f32_e32 v22, 0x3f65296c, v47
	v_pk_add_f32 v[70:71], v[74:75], v[70:71]
	v_pk_add_f32 v[74:75], v[4:5], v[22:23]
	v_pk_add_f32 v[80:81], v[4:5], v[22:23] neg_lo:[0,1] neg_hi:[0,1]
	v_mul_f32_e32 v4, 0xbe8c1d8e, v24
	v_mov_b32_e32 v75, v80
	v_mul_f32_e32 v22, 0xbf763a35, v35
	v_pk_add_f32 v[70:71], v[70:71], v[74:75]
	v_pk_add_f32 v[74:75], v[4:5], v[22:23]
	v_pk_add_f32 v[80:81], v[4:5], v[22:23] neg_lo:[0,1] neg_hi:[0,1]
	v_mul_f32_e32 v4, 0x3f7ee86f, v68
	v_mov_b32_e32 v75, v80
	v_mul_f32_e32 v22, 0x3dbcf732, v66
	v_pk_add_f32 v[70:71], v[74:75], v[70:71]
	v_pk_add_f32 v[68:69], v[22:23], v[4:5]
	v_pk_add_f32 v[74:75], v[22:23], v[4:5] neg_lo:[0,1] neg_hi:[0,1]
	v_pk_fma_f32 v[64:65], v[64:65], s[54:55], v[72:73] op_sel_hi:[0,1,1] neg_lo:[0,0,1] neg_hi:[0,0,1]
	v_mov_b32_e32 v69, v74
	v_pk_add_f32 v[68:69], v[70:71], v[68:69]
	ds_write2_b32 v122, v68, v69 offset0:8 offset1:9
	v_pk_add_f32 v[64:65], v[58:59], v[64:65] op_sel:[1,0]
	v_pk_fma_f32 v[68:69], v[10:11], s[58:59], v[76:77] op_sel_hi:[0,1,1] neg_lo:[0,0,1] neg_hi:[0,0,1]
	v_pk_add_f32 v[64:65], v[64:65], v[68:69]
	v_pk_fma_f32 v[68:69], v[12:13], s[64:65], v[78:79] op_sel_hi:[0,1,1] neg_lo:[0,0,1] neg_hi:[0,0,1]
	v_pk_add_f32 v[64:65], v[68:69], v[64:65]
	;; [unrolled: 2-line block ×7, first 2 shown]
	ds_write2_b32 v122, v65, v64 offset0:14 offset1:15
	ds_write_b32 v122, v3 offset:64
	v_mov_b32_e32 v4, v65
	v_mov_b32_e32 v59, v64
.LBB0_13:
	s_or_b64 exec, exec, s[20:21]
	v_pk_add_f32 v[64:65], v[8:9], v[6:7]
	v_mov_b32_e32 v40, v57
	v_pk_add_f32 v[50:51], v[64:65], v[50:51]
	v_mov_b32_e32 v89, 0x3f6eb680
	;; [unrolled: 2-line block ×5, first 2 shown]
	v_mov_b32_e32 v6, v51
	v_pk_add_f32 v[64:65], v[6:7], v[40:41]
	v_pk_mul_f32 v[70:71], v[52:53], s[6:7]
	v_pk_mul_f32 v[84:85], v[64:65], v[88:89]
	v_mov_b32_e32 v52, v13
	v_mov_b32_e32 v53, v30
	v_fmamk_f32 v6, v26, 0xbeb8f4ab, v85
	v_add_f32_e32 v4, v70, v71
	v_pk_mul_f32 v[72:73], v[52:53], s[10:11]
	v_mov_b32_e32 v52, v15
	v_mov_b32_e32 v53, v32
	v_add_f32_e32 v6, v9, v6
	v_add_f32_e32 v22, v72, v73
	v_pk_mul_f32 v[78:79], v[52:53], s[12:13]
	v_mov_b32_e32 v52, v17
	v_mov_b32_e32 v53, v36
	v_add_f32_e32 v4, v6, v4
	;; [unrolled: 5-line block ×4, first 2 shown]
	v_add_f32_e32 v44, v76, v77
	v_pk_mul_f32 v[80:81], v[52:53], s[18:19]
	v_add_f32_e32 v4, v42, v4
	v_mov_b32_e32 v59, v8
	v_add_f32_e32 v4, v4, v44
	v_add_f32_e32 v6, v80, v81
	v_pk_add_f32 v[66:67], v[18:19], v[58:59]
	v_pk_add_f32 v[68:69], v[18:19], v[58:59] neg_lo:[0,1] neg_hi:[0,1]
	v_add_f32_e32 v22, v6, v4
	v_mov_b32_e32 v6, v67
	v_mov_b32_e32 v7, v68
	v_lshl_add_u32 v75, v2, 2, 0
	v_add_u32_e32 v4, 0x132, v2
	v_pk_mul_f32 v[86:87], v[6:7], s[2:3]
	v_add_u32_e32 v92, 0x400, v75
	v_add_u32_e32 v96, 0x600, v75
	;; [unrolled: 1-line block ×4, first 2 shown]
	v_lshl_add_u32 v90, v4, 2, 0
	s_waitcnt lgkmcnt(0)
	; wave barrier
	s_waitcnt lgkmcnt(0)
	ds_read2_b32 v[58:59], v75 offset1:51
	ds_read2_b32 v[56:57], v92 offset0:152 offset1:203
	ds_read2_b32 v[62:63], v75 offset0:102 offset1:153
	;; [unrolled: 1-line block ×6, first 2 shown]
	v_lshl_add_u32 v91, v6, 2, 0
	ds_read_b32 v95, v90
	ds_read_b32 v94, v91
	v_add_f32_e32 v7, v86, v87
	v_add_f32_e32 v7, v22, v7
	s_waitcnt lgkmcnt(0)
	; wave barrier
	s_waitcnt lgkmcnt(0)
	s_and_saveexec_b64 s[2:3], s[0:1]
	s_cbranch_execz .LBB0_15
; %bb.14:
	v_mov_b32_e32 v18, v19
	v_mul_f32_e32 v99, 0xbeb8f4ab, v26
	v_pk_add_f32 v[88:89], v[64:65], v[88:89]
	v_mov_b32_e32 v98, v19
	v_mov_b32_e32 v97, v70
	v_pk_add_f32 v[18:19], v[88:89], v[18:19]
	v_pk_add_f32 v[84:85], v[84:85], v[98:99] neg_lo:[0,1] neg_hi:[0,1]
	v_pk_add_f32 v[100:101], v[96:97], v[70:71] neg_lo:[0,1] neg_hi:[0,1]
	v_mov_b32_e32 v71, v72
	v_mov_b32_e32 v19, v85
	v_pk_add_f32 v[102:103], v[70:71], v[72:73] neg_lo:[0,1] neg_hi:[0,1]
	v_mov_b32_e32 v71, v78
	v_pk_add_f32 v[18:19], v[18:19], v[8:9]
	v_mov_b32_e32 v100, v5
	v_pk_add_f32 v[104:105], v[70:71], v[78:79] neg_lo:[0,1] neg_hi:[0,1]
	v_mul_f32_e32 v70, 0x3f2c7751, v32
	v_mov_b32_e32 v71, v82
	v_pk_add_f32 v[18:19], v[100:101], v[18:19]
	v_mov_b32_e32 v102, v23
	v_pk_add_f32 v[82:83], v[70:71], v[82:83] neg_lo:[0,1] neg_hi:[0,1]
	v_mov_b32_e32 v71, v76
	v_pk_add_f32 v[18:19], v[102:103], v[18:19]
	v_mov_b32_e32 v104, v43
	v_pk_add_f32 v[106:107], v[70:71], v[76:77] neg_lo:[0,1] neg_hi:[0,1]
	;; [unrolled: 4-line block ×3, first 2 shown]
	v_pk_add_f32 v[18:19], v[82:83], v[18:19]
	v_mov_b32_e32 v106, v39
	v_mov_b32_e32 v5, v86
	v_pk_add_f32 v[18:19], v[106:107], v[18:19]
	v_mov_b32_e32 v80, v45
	v_pk_add_f32 v[86:87], v[4:5], v[86:87] neg_lo:[0,1] neg_hi:[0,1]
	s_mov_b32 s1, 0x3f3d2fb0
	s_mov_b32 s26, 0xbf7ee86f
	v_pk_add_f32 v[18:19], v[80:81], v[18:19]
	v_mov_b32_e32 v86, v41
	s_mov_b32 s31, 0xbf65296c
	s_mov_b32 s30, 0xbf2c7751
	;; [unrolled: 1-line block ×5, first 2 shown]
	v_pk_add_f32 v[18:19], v[86:87], v[18:19]
	v_pk_mul_f32 v[86:87], v[26:27], s[30:31] op_sel_hi:[0,1]
	s_mov_b32 s14, s1
	s_mov_b32 s19, 0xbf1a4643
	v_pk_mul_f32 v[88:89], v[28:29], s[26:27] op_sel_hi:[0,1]
	s_mov_b32 s35, 0x3e3c28d5
	s_mov_b32 s34, s27
	v_pk_fma_f32 v[116:117], v[64:65], s[14:15], v[86:87] op_sel:[1,0,0] neg_lo:[0,0,1] neg_hi:[0,0,1]
	s_mov_b32 s10, 0xbe3c28d5
	s_mov_b32 s25, 0xbf7ba420
	v_pk_fma_f32 v[98:99], v[10:11], s[18:19], v[88:89] op_sel:[1,0,0] neg_lo:[0,0,1] neg_hi:[0,0,1]
	s_mov_b32 s24, s19
	v_pk_mul_f32 v[100:101], v[30:31], s[34:35] op_sel_hi:[0,1]
	s_mov_b32 s11, 0x3f763a35
	v_pk_add_f32 v[116:117], v[8:9], v[116:117] op_sel:[1,0]
	s_mov_b32 s13, 0x3f2c7751
	s_mov_b32 s23, 0xbe8c1d8e
	v_pk_fma_f32 v[102:103], v[12:13], s[24:25], v[100:101] op_sel:[1,0,0] neg_lo:[0,0,1] neg_hi:[0,0,1]
	s_mov_b32 s22, s25
	v_pk_mul_f32 v[104:105], v[32:33], s[10:11] op_sel_hi:[0,1]
	s_mov_b32 s12, 0x3f06c442
	v_pk_add_f32 v[98:99], v[116:117], v[98:99]
	s_mov_b32 s0, 0xbf59a7d5
	v_pk_fma_f32 v[106:107], v[14:15], s[22:23], v[104:105] op_sel:[1,0,0] neg_lo:[0,0,1] neg_hi:[0,0,1]
	v_pk_mul_f32 v[108:109], v[36:37], s[12:13] op_sel_hi:[0,1]
	s_mov_b32 s35, 0xbeb8f4ab
	s_mov_b32 s34, s11
	v_pk_add_f32 v[98:99], v[102:103], v[98:99]
	s_mov_b32 s7, 0x3f6eb680
	s_mov_b32 s16, 0x3f65296c
	v_pk_fma_f32 v[110:111], v[16:17], s[0:1], v[108:109] op_sel:[1,0,0] neg_lo:[0,0,1] neg_hi:[0,0,1]
	s_mov_b32 s6, s23
	v_pk_mul_f32 v[112:113], v[46:47], s[34:35] op_sel_hi:[0,1]
	v_pk_add_f32 v[98:99], v[98:99], v[106:107]
	s_mov_b32 s17, s26
	v_pk_fma_f32 v[86:87], v[64:65], s[14:15], v[86:87] op_sel:[1,0,0]
	v_pk_fma_f32 v[114:115], v[20:21], s[6:7], v[112:113] op_sel:[1,0,0] neg_lo:[0,0,1] neg_hi:[0,0,1]
	v_pk_add_f32 v[98:99], v[110:111], v[98:99]
	s_mov_b32 s36, s15
	s_mov_b32 s37, s18
	v_pk_mul_f32 v[102:103], v[34:35], s[16:17] op_sel_hi:[0,1]
	v_pk_fma_f32 v[88:89], v[10:11], s[18:19], v[88:89] op_sel:[1,0,0]
	v_pk_add_f32 v[86:87], v[8:9], v[86:87] op_sel:[1,0]
	s_mov_b32 s20, 0x3eb8f4ab
	s_mov_b32 s21, 0xbf06c442
	v_pk_add_f32 v[98:99], v[98:99], v[114:115]
	v_pk_fma_f32 v[106:107], v[24:25], s[36:37], v[102:103] op_sel:[1,0,0] neg_lo:[0,0,1] neg_hi:[0,0,1]
	v_pk_fma_f32 v[100:101], v[12:13], s[24:25], v[100:101] op_sel:[1,0,0]
	v_pk_add_f32 v[86:87], v[86:87], v[88:89]
	v_pk_add_f32 v[98:99], v[106:107], v[98:99]
	s_mov_b32 s38, s7
	s_mov_b32 s39, s0
	v_pk_mul_f32 v[106:107], v[68:69], s[20:21] op_sel_hi:[0,1]
	v_pk_fma_f32 v[104:105], v[14:15], s[22:23], v[104:105] op_sel:[1,0,0]
	v_pk_add_f32 v[86:87], v[100:101], v[86:87]
	v_pk_fma_f32 v[110:111], v[66:67], s[38:39], v[106:107] op_sel:[1,0,0] neg_lo:[0,0,1] neg_hi:[0,0,1]
	v_pk_fma_f32 v[108:109], v[16:17], s[0:1], v[108:109] op_sel:[1,0,0]
	v_pk_add_f32 v[86:87], v[86:87], v[104:105]
	v_pk_add_f32 v[98:99], v[98:99], v[110:111]
	v_pk_fma_f32 v[110:111], v[20:21], s[6:7], v[112:113] op_sel:[1,0,0]
	v_pk_add_f32 v[86:87], v[108:109], v[86:87]
	v_pk_fma_f32 v[88:89], v[24:25], s[36:37], v[102:103] op_sel:[1,0,0]
	v_pk_add_f32 v[86:87], v[86:87], v[110:111]
	s_mov_b32 s29, 0xbf763a35
	v_pk_add_f32 v[86:87], v[88:89], v[86:87]
	v_pk_fma_f32 v[88:89], v[66:67], s[38:39], v[106:107] op_sel:[1,0,0]
	s_mov_b32 s28, s26
	v_pk_add_f32 v[86:87], v[86:87], v[88:89]
	v_pk_mul_f32 v[88:89], v[26:27], s[28:29] op_sel_hi:[0,1]
	s_mov_b32 s38, s10
	s_mov_b32 s39, s12
	;; [unrolled: 1-line block ×5, first 2 shown]
	v_pk_mul_f32 v[100:101], v[28:29], s[38:39] op_sel_hi:[0,1]
	s_mov_b32 s12, s11
	v_pk_fma_f32 v[120:121], v[64:65], s[22:23], v[88:89] op_sel:[1,0,0] neg_lo:[0,0,1] neg_hi:[0,0,1]
	v_pk_fma_f32 v[102:103], v[10:11], s[36:37], v[100:101] op_sel:[1,0,0] neg_lo:[0,0,1] neg_hi:[0,0,1]
	s_mov_b32 s38, s23
	s_mov_b32 s39, s1
	v_pk_mul_f32 v[104:105], v[30:31], s[12:13] op_sel_hi:[0,1]
	s_mov_b32 s40, s20
	s_mov_b32 s41, s31
	v_pk_add_f32 v[120:121], v[8:9], v[120:121] op_sel:[1,0]
	v_pk_fma_f32 v[106:107], v[12:13], s[38:39], v[104:105] op_sel:[1,0,0] neg_lo:[0,0,1] neg_hi:[0,0,1]
	s_mov_b32 s14, s7
	v_pk_mul_f32 v[108:109], v[32:33], s[40:41] op_sel_hi:[0,1]
	s_mov_b32 s40, s31
	s_mov_b32 s41, s10
	v_pk_add_f32 v[102:103], v[120:121], v[102:103]
	v_pk_fma_f32 v[110:111], v[14:15], s[14:15], v[108:109] op_sel:[1,0,0] neg_lo:[0,0,1] neg_hi:[0,0,1]
	s_mov_b32 s24, s15
	v_pk_mul_f32 v[112:113], v[36:37], s[40:41] op_sel_hi:[0,1]
	s_mov_b32 s43, 0x3f7ee86f
	s_mov_b32 s42, s21
	v_pk_add_f32 v[102:103], v[106:107], v[102:103]
	v_pk_fma_f32 v[114:115], v[16:17], s[24:25], v[112:113] op_sel:[1,0,0] neg_lo:[0,0,1] neg_hi:[0,0,1]
	s_mov_b32 s40, s0
	s_mov_b32 s41, s18
	v_pk_mul_f32 v[116:117], v[46:47], s[42:43] op_sel_hi:[0,1]
	v_pk_add_f32 v[102:103], v[102:103], v[110:111]
	s_mov_b32 s34, 0x3f4c4adb
	v_pk_fma_f32 v[88:89], v[64:65], s[22:23], v[88:89] op_sel:[1,0,0]
	v_pk_fma_f32 v[118:119], v[20:21], s[40:41], v[116:117] op_sel:[1,0,0] neg_lo:[0,0,1] neg_hi:[0,0,1]
	v_pk_add_f32 v[102:103], v[114:115], v[102:103]
	s_mov_b32 s6, s19
	v_pk_mul_f32 v[106:107], v[34:35], s[34:35] op_sel_hi:[0,1]
	v_pk_fma_f32 v[100:101], v[10:11], s[36:37], v[100:101] op_sel:[1,0,0]
	v_pk_add_f32 v[88:89], v[8:9], v[88:89] op_sel:[1,0]
	v_pk_add_f32 v[102:103], v[102:103], v[118:119]
	v_pk_fma_f32 v[110:111], v[24:25], s[6:7], v[106:107] op_sel:[1,0,0] neg_lo:[0,0,1] neg_hi:[0,0,1]
	s_mov_b32 s46, s13
	s_mov_b32 s47, s27
	v_pk_fma_f32 v[104:105], v[12:13], s[38:39], v[104:105] op_sel:[1,0,0]
	v_pk_add_f32 v[88:89], v[88:89], v[100:101]
	v_pk_add_f32 v[102:103], v[110:111], v[102:103]
	s_mov_b32 s44, s1
	s_mov_b32 s45, s19
	v_pk_mul_f32 v[110:111], v[68:69], s[46:47] op_sel_hi:[0,1]
	v_pk_fma_f32 v[108:109], v[14:15], s[14:15], v[108:109] op_sel:[1,0,0]
	v_pk_add_f32 v[88:89], v[104:105], v[88:89]
	v_pk_fma_f32 v[114:115], v[66:67], s[44:45], v[110:111] op_sel:[1,0,0] neg_lo:[0,0,1] neg_hi:[0,0,1]
	v_pk_fma_f32 v[112:113], v[16:17], s[24:25], v[112:113] op_sel:[1,0,0]
	v_pk_add_f32 v[88:89], v[88:89], v[108:109]
	v_pk_add_f32 v[102:103], v[102:103], v[114:115]
	v_pk_fma_f32 v[114:115], v[20:21], s[40:41], v[116:117] op_sel:[1,0,0]
	v_pk_add_f32 v[88:89], v[112:113], v[88:89]
	s_mov_b32 s20, s27
	s_mov_b32 s36, s11
	;; [unrolled: 1-line block ×3, first 2 shown]
	v_mul_f32_e32 v22, 0xbe3c28d5, v26
	v_mul_f32_e32 v74, 0x3eb8f4ab, v28
	v_pk_add_f32 v[88:89], v[88:89], v[114:115]
	v_pk_fma_f32 v[100:101], v[24:25], s[6:7], v[106:107] op_sel:[1,0,0]
	v_pk_mul_f32 v[26:27], v[26:27], s[20:21] op_sel_hi:[0,1]
	v_pk_mul_f32 v[28:29], v[28:29], s[36:37] op_sel_hi:[0,1]
	s_mov_b32 s37, s18
	s_mov_b32 s27, s19
	;; [unrolled: 1-line block ×5, first 2 shown]
	v_pk_add_f32 v[88:89], v[100:101], v[88:89]
	v_pk_fma_f32 v[100:101], v[66:67], s[44:45], v[110:111] op_sel:[1,0,0]
	s_mov_b32 s14, s23
	s_mov_b32 s38, s35
	;; [unrolled: 1-line block ×3, first 2 shown]
	v_pk_fma_f32 v[112:113], v[64:65], s[18:19], v[26:27] op_sel:[1,0,0] neg_lo:[0,0,1] neg_hi:[0,0,1]
	v_pk_fma_f32 v[26:27], v[64:65], s[18:19], v[26:27] op_sel:[1,0,0]
	v_mul_f32_e32 v42, 0x3f6eb680, v11
	v_mul_f32_e32 v72, 0xbf06c442, v30
	v_pk_add_f32 v[88:89], v[88:89], v[100:101]
	v_pk_fma_f32 v[100:101], v[10:11], s[14:15], v[28:29] op_sel:[1,0,0] neg_lo:[0,0,1] neg_hi:[0,0,1]
	s_mov_b32 s36, s7
	v_pk_mul_f32 v[30:31], v[30:31], s[38:39] op_sel_hi:[0,1]
	s_mov_b32 s20, s21
	s_mov_b32 s21, s34
	v_pk_fma_f32 v[10:11], v[10:11], s[14:15], v[28:29] op_sel:[1,0,0]
	v_pk_add_f32 v[26:27], v[8:9], v[26:27] op_sel:[1,0]
	v_mul_f32_e32 v40, 0xbf59a7d5, v13
	v_pk_fma_f32 v[104:105], v[12:13], s[36:37], v[30:31] op_sel:[1,0,0] neg_lo:[0,0,1] neg_hi:[0,0,1]
	s_mov_b32 s26, s0
	v_pk_mul_f32 v[32:33], v[32:33], s[20:21] op_sel_hi:[0,1]
	s_mov_b32 s34, s43
	v_pk_fma_f32 v[12:13], v[12:13], s[36:37], v[30:31] op_sel:[1,0,0]
	v_pk_add_f32 v[10:11], v[26:27], v[10:11]
	v_mul_f32_e32 v38, 0x3f3d2fb0, v15
	v_mul_f32_e32 v78, 0xbf4c4adb, v36
	v_pk_fma_f32 v[106:107], v[14:15], s[26:27], v[32:33] op_sel:[1,0,0] neg_lo:[0,0,1] neg_hi:[0,0,1]
	v_pk_mul_f32 v[36:37], v[36:37], s[34:35] op_sel_hi:[0,1]
	s_mov_b32 s31, s10
	v_pk_fma_f32 v[14:15], v[14:15], s[26:27], v[32:33] op_sel:[1,0,0]
	v_pk_add_f32 v[10:11], v[12:13], v[10:11]
	v_mul_f32_e32 v44, 0xbf1a4643, v17
	v_mul_f32_e32 v76, 0x3f65296c, v46
	v_pk_fma_f32 v[108:109], v[16:17], s[6:7], v[36:37] op_sel:[1,0,0] neg_lo:[0,0,1] neg_hi:[0,0,1]
	s_mov_b32 s24, s1
	v_pk_mul_f32 v[46:47], v[46:47], s[30:31] op_sel_hi:[0,1]
	v_pk_fma_f32 v[16:17], v[16:17], s[6:7], v[36:37] op_sel:[1,0,0]
	v_pk_add_f32 v[10:11], v[10:11], v[14:15]
	v_mul_f32_e32 v48, 0x3ee437d1, v21
	v_pk_fma_f32 v[110:111], v[20:21], s[24:25], v[46:47] op_sel:[1,0,0] neg_lo:[0,0,1] neg_hi:[0,0,1]
	v_pk_add_f32 v[112:113], v[8:9], v[112:113] op_sel:[1,0]
	s_mov_b32 s11, s13
	v_pk_fma_f32 v[20:21], v[20:21], s[24:25], v[46:47] op_sel:[1,0,0]
	v_pk_add_f32 v[10:11], v[16:17], v[10:11]
	v_mul_f32_e32 v82, 0xbf763a35, v34
	v_pk_add_f32 v[100:101], v[112:113], v[100:101]
	s_mov_b32 s0, s25
	v_pk_mul_f32 v[34:35], v[34:35], s[10:11] op_sel_hi:[0,1]
	v_pk_add_f32 v[10:11], v[10:11], v[20:21]
	v_pk_add_f32 v[16:17], v[42:43], v[74:75] neg_lo:[0,1] neg_hi:[0,1]
	v_pk_add_f32 v[20:21], v[42:43], v[74:75]
	v_mul_f32_e32 v80, 0xbe8c1d8e, v25
	v_pk_add_f32 v[100:101], v[104:105], v[100:101]
	v_pk_fma_f32 v[104:105], v[24:25], s[0:1], v[34:35] op_sel:[1,0,0] neg_lo:[0,0,1] neg_hi:[0,0,1]
	v_pk_fma_f32 v[12:13], v[24:25], s[0:1], v[34:35] op_sel:[1,0,0]
	v_mov_b32_e32 v17, v20
	v_pk_add_f32 v[20:21], v[40:41], v[72:73] neg_lo:[0,1] neg_hi:[0,1]
	v_pk_add_f32 v[24:25], v[40:41], v[72:73]
	v_pk_add_f32 v[26:27], v[38:39], v[70:71]
	v_mov_b32_e32 v21, v24
	v_pk_add_f32 v[24:25], v[38:39], v[70:71] neg_lo:[0,1] neg_hi:[0,1]
	v_pk_add_f32 v[28:29], v[44:45], v[78:79]
	v_mov_b32_e32 v25, v26
	v_pk_add_f32 v[26:27], v[44:45], v[78:79] neg_lo:[0,1] neg_hi:[0,1]
	v_mul_f32_e32 v84, 0xbf7ba420, v65
	v_mov_b32_e32 v27, v28
	v_pk_add_f32 v[28:29], v[48:49], v[76:77] neg_lo:[0,1] neg_hi:[0,1]
	v_pk_add_f32 v[30:31], v[48:49], v[76:77]
	v_pk_add_f32 v[100:101], v[100:101], v[106:107]
	v_mov_b32_e32 v29, v30
	v_pk_add_f32 v[30:31], v[84:85], v[22:23] neg_lo:[0,1] neg_hi:[0,1]
	v_pk_add_f32 v[22:23], v[84:85], v[22:23]
	v_pk_add_f32 v[100:101], v[108:109], v[100:101]
	v_mov_b32_e32 v31, v22
	v_pk_add_f32 v[8:9], v[8:9], v[30:31] op_sel:[1,0]
	v_pk_add_f32 v[100:101], v[100:101], v[110:111]
	v_pk_add_f32 v[8:9], v[8:9], v[16:17]
	s_mov_b32 s17, s29
	v_pk_add_f32 v[8:9], v[20:21], v[8:9]
	v_pk_add_f32 v[100:101], v[104:105], v[100:101]
	s_mov_b32 s22, s15
	v_pk_mul_f32 v[104:105], v[68:69], s[16:17] op_sel_hi:[0,1]
	v_pk_add_f32 v[8:9], v[8:9], v[24:25]
	v_pk_add_f32 v[10:11], v[12:13], v[10:11]
	v_pk_fma_f32 v[12:13], v[66:67], s[22:23], v[104:105] op_sel:[1,0,0]
	v_pk_add_f32 v[8:9], v[26:27], v[8:9]
	v_pk_add_f32 v[16:17], v[80:81], v[82:83] neg_lo:[0,1] neg_hi:[0,1]
	v_pk_add_f32 v[20:21], v[80:81], v[82:83]
	v_pk_add_f32 v[10:11], v[10:11], v[12:13]
	v_mul_f32_e32 v12, 0x3dbcf732, v67
	v_mul_f32_e32 v14, 0x3f7ee86f, v68
	v_pk_add_f32 v[8:9], v[8:9], v[28:29]
	v_mov_b32_e32 v17, v20
	v_pk_add_f32 v[8:9], v[16:17], v[8:9]
	v_pk_add_f32 v[16:17], v[12:13], v[14:15] neg_lo:[0,1] neg_hi:[0,1]
	v_pk_add_f32 v[12:13], v[12:13], v[14:15]
	v_pk_fma_f32 v[106:107], v[66:67], s[22:23], v[104:105] op_sel:[1,0,0] neg_lo:[0,0,1] neg_hi:[0,0,1]
	v_mov_b32_e32 v17, v12
	v_lshl_add_u32 v12, v2, 6, v75
	v_pk_add_f32 v[100:101], v[100:101], v[106:107]
	v_pk_add_f32 v[8:9], v[8:9], v[16:17]
	ds_write2_b32 v12, v18, v19 offset1:1
	ds_write2_b32 v12, v98, v99 offset0:2 offset1:3
	ds_write2_b32 v12, v102, v103 offset0:4 offset1:5
	;; [unrolled: 1-line block ×6, first 2 shown]
	v_mov_b32_e32 v5, v86
	ds_write2_b32 v12, v87, v86 offset0:14 offset1:15
	ds_write_b32 v12, v7 offset:64
.LBB0_15:
	s_or_b64 exec, exec, s[2:3]
	v_add_u32_e32 v70, 51, v2
	s_movk_i32 s0, 0xf1
	v_mul_lo_u16_sdwa v8, v70, s0 dst_sel:DWORD dst_unused:UNUSED_PAD src0_sel:BYTE_0 src1_sel:DWORD
	v_lshrrev_b16_e32 v17, 12, v8
	v_add_u32_e32 v69, 0x66, v2
	v_mul_lo_u16_e32 v8, 17, v17
	v_sub_u16_e32 v18, v70, v8
	v_mul_lo_u16_sdwa v8, v69, s0 dst_sel:DWORD dst_unused:UNUSED_PAD src0_sel:BYTE_0 src1_sel:DWORD
	v_lshrrev_b16_e32 v20, 12, v8
	v_add_u32_e32 v68, 0x99, v2
	v_mul_lo_u16_sdwa v5, v2, s0 dst_sel:DWORD dst_unused:UNUSED_PAD src0_sel:BYTE_0 src1_sel:DWORD
	v_mul_lo_u16_e32 v8, 17, v20
	v_lshrrev_b16_e32 v14, 12, v5
	v_sub_u16_e32 v21, v69, v8
	v_mul_lo_u16_sdwa v8, v68, s0 dst_sel:DWORD dst_unused:UNUSED_PAD src0_sel:BYTE_0 src1_sel:DWORD
	v_mul_lo_u16_e32 v5, 17, v14
	v_lshrrev_b16_e32 v23, 12, v8
	v_sub_u16_e32 v15, v2, v5
	v_mov_b32_e32 v5, 3
	v_mul_lo_u16_e32 v8, 17, v23
	v_add_u32_e32 v67, 0xcc, v2
	v_lshlrev_b32_sdwa v16, v5, v15 dst_sel:DWORD dst_unused:UNUSED_PAD src0_sel:DWORD src1_sel:BYTE_0
	v_sub_u16_e32 v24, v68, v8
	v_add_u32_e32 v66, 0xff, v2
	s_waitcnt lgkmcnt(0)
	; wave barrier
	s_waitcnt lgkmcnt(0)
	v_lshlrev_b32_sdwa v19, v5, v18 dst_sel:DWORD dst_unused:UNUSED_PAD src0_sel:DWORD src1_sel:BYTE_0
	v_lshlrev_b32_sdwa v22, v5, v21 dst_sel:DWORD dst_unused:UNUSED_PAD src0_sel:DWORD src1_sel:BYTE_0
	;; [unrolled: 1-line block ×3, first 2 shown]
	global_load_dwordx2 v[28:29], v16, s[4:5]
	global_load_dwordx2 v[12:13], v19, s[4:5]
	;; [unrolled: 1-line block ×4, first 2 shown]
	v_mul_lo_u16_sdwa v16, v67, s0 dst_sel:DWORD dst_unused:UNUSED_PAD src0_sel:BYTE_0 src1_sel:DWORD
	s_mov_b32 s0, 0xf0f1
	v_lshrrev_b16_e32 v16, 12, v16
	v_mul_u32_u24_sdwa v22, v66, s0 dst_sel:DWORD dst_unused:UNUSED_PAD src0_sel:WORD_0 src1_sel:DWORD
	v_mul_u32_u24_sdwa v27, v4, s0 dst_sel:DWORD dst_unused:UNUSED_PAD src0_sel:WORD_0 src1_sel:DWORD
	;; [unrolled: 1-line block ×3, first 2 shown]
	v_mul_lo_u16_e32 v19, 17, v16
	v_lshrrev_b32_e32 v22, 20, v22
	v_lshrrev_b32_e32 v27, 20, v27
	;; [unrolled: 1-line block ×3, first 2 shown]
	v_sub_u16_e32 v19, v67, v19
	v_mul_lo_u16_e32 v25, 17, v22
	v_mul_lo_u16_e32 v30, 17, v27
	;; [unrolled: 1-line block ×3, first 2 shown]
	v_lshlrev_b32_sdwa v5, v5, v19 dst_sel:DWORD dst_unused:UNUSED_PAD src0_sel:DWORD src1_sel:BYTE_0
	v_sub_u16_e32 v25, v66, v25
	v_sub_u16_e32 v76, v4, v30
	;; [unrolled: 1-line block ×3, first 2 shown]
	v_lshlrev_b32_e32 v26, 3, v25
	v_lshlrev_b32_e32 v30, 3, v76
	;; [unrolled: 1-line block ×3, first 2 shown]
	global_load_dwordx2 v[42:43], v5, s[4:5]
	global_load_dwordx2 v[40:41], v26, s[4:5]
	;; [unrolled: 1-line block ×4, first 2 shown]
	ds_read2_b32 v[38:39], v75 offset1:51
	ds_read2_b32 v[64:65], v92 offset0:152 offset1:203
	ds_read2_b32 v[32:33], v75 offset0:102 offset1:153
	;; [unrolled: 1-line block ×6, first 2 shown]
	ds_read_b32 v72, v90
	ds_read_b32 v71, v91
	v_mov_b32_e32 v89, 2
	v_mul_u32_u24_e32 v14, 0x88, v14
	v_lshlrev_b32_sdwa v15, v89, v15 dst_sel:DWORD dst_unused:UNUSED_PAD src0_sel:DWORD src1_sel:BYTE_0
	s_waitcnt lgkmcnt(0)
	; wave barrier
	s_waitcnt lgkmcnt(0)
	s_mov_b32 s1, 0x5040100
	s_movk_i32 s0, 0x88
	s_waitcnt vmcnt(7)
	v_mul_f32_e32 v5, v64, v29
	s_waitcnt vmcnt(6)
	v_mul_f32_e32 v26, v65, v13
	;; [unrolled: 2-line block ×4, first 2 shown]
	v_fmac_f32_e32 v73, v52, v10
	v_fmac_f32_e32 v5, v56, v28
	;; [unrolled: 1-line block ×4, first 2 shown]
	v_sub_f32_e32 v73, v62, v73
	v_sub_f32_e32 v83, v58, v5
	;; [unrolled: 1-line block ×4, first 2 shown]
	v_fma_f32 v84, v62, 2.0, -v73
	v_fma_f32 v58, v58, 2.0, -v83
	;; [unrolled: 1-line block ×4, first 2 shown]
	s_waitcnt vmcnt(3)
	v_mul_f32_e32 v79, v46, v43
	s_waitcnt vmcnt(2)
	v_mul_f32_e32 v80, v47, v41
	v_fmac_f32_e32 v79, v50, v42
	v_fmac_f32_e32 v80, v51, v40
	v_sub_f32_e32 v79, v60, v79
	v_fma_f32 v86, v60, 2.0, -v79
	v_sub_f32_e32 v80, v61, v80
	v_add3_u32 v60, 0, v14, v15
	v_mul_u32_u24_e32 v14, 0x88, v17
	v_lshlrev_b32_sdwa v15, v89, v18 dst_sel:DWORD dst_unused:UNUSED_PAD src0_sel:DWORD src1_sel:BYTE_0
	v_fma_f32 v87, v61, 2.0, -v80
	v_add3_u32 v61, 0, v14, v15
	v_mul_u32_u24_e32 v14, 0x88, v20
	v_lshlrev_b32_sdwa v15, v89, v21 dst_sel:DWORD dst_unused:UNUSED_PAD src0_sel:DWORD src1_sel:BYTE_0
	v_add3_u32 v62, 0, v14, v15
	v_mul_u32_u24_e32 v14, 0x88, v23
	v_lshlrev_b32_sdwa v15, v89, v24 dst_sel:DWORD dst_unused:UNUSED_PAD src0_sel:DWORD src1_sel:BYTE_0
	;; [unrolled: 3-line block ×3, first 2 shown]
	ds_write2_b32 v60, v58, v83 offset1:17
	ds_write2_b32 v61, v59, v26 offset1:17
	;; [unrolled: 1-line block ×3, first 2 shown]
	v_add3_u32 v73, 0, v14, v15
	v_mul_u32_u24_e32 v14, 0x88, v22
	v_lshlrev_b32_e32 v15, 2, v25
	ds_write2_b32 v63, v85, v74 offset1:17
	v_add3_u32 v74, 0, v14, v15
	v_perm_b32 v14, v77, v27, s1
	s_waitcnt vmcnt(1)
	v_mul_f32_e32 v81, v44, v37
	s_waitcnt vmcnt(0)
	v_mul_f32_e32 v82, v45, v35
	v_pk_mul_lo_u16 v14, v14, s0 op_sel_hi:[1,0]
	v_fmac_f32_e32 v81, v54, v36
	v_fmac_f32_e32 v82, v55, v34
	v_and_b32_e32 v15, 0xfff8, v14
	v_lshlrev_b32_e32 v16, 2, v76
	v_sub_f32_e32 v81, v95, v81
	v_sub_f32_e32 v5, v94, v82
	v_add3_u32 v76, 0, v15, v16
	v_lshrrev_b32_e32 v14, 16, v14
	v_lshlrev_b32_e32 v15, 2, v78
	v_fma_f32 v88, v95, 2.0, -v81
	v_fma_f32 v82, v94, 2.0, -v5
	v_add3_u32 v77, 0, v14, v15
	v_add_u32_e32 v78, 0x200, v75
	ds_write2_b32 v73, v86, v79 offset1:17
	ds_write2_b32 v74, v87, v80 offset1:17
	;; [unrolled: 1-line block ×4, first 2 shown]
	s_waitcnt lgkmcnt(0)
	; wave barrier
	s_waitcnt lgkmcnt(0)
	ds_read2_b32 v[18:19], v75 offset1:51
	ds_read2_b32 v[14:15], v78 offset0:76 offset1:144
	ds_read2_b32 v[26:27], v93 offset0:32 offset1:83
	ds_read2_b32 v[24:25], v92 offset0:67 offset1:118
	ds_read2_b32 v[16:17], v75 offset0:102 offset1:153
	ds_read2_b32 v[22:23], v93 offset0:134 offset1:185
	ds_read2_b32 v[20:21], v92 offset0:169 offset1:220
	ds_read_b32 v58, v75 offset:2992
	v_cmp_gt_u32_e64 s[0:1], 17, v2
                                        ; implicit-def: $vgpr59
	s_and_saveexec_b64 s[2:3], s[0:1]
	s_cbranch_execz .LBB0_17
; %bb.16:
	ds_read_b32 v5, v75 offset:1020
	ds_read_b32 v3, v75 offset:2108
	;; [unrolled: 1-line block ×3, first 2 shown]
.LBB0_17:
	s_or_b64 exec, exec, s[2:3]
	v_mul_f32_e32 v29, v56, v29
	v_fma_f32 v28, v64, v28, -v29
	v_mul_f32_e32 v13, v57, v13
	v_mul_f32_e32 v11, v52, v11
	;; [unrolled: 1-line block ×4, first 2 shown]
	v_fma_f32 v12, v65, v12, -v13
	v_fma_f32 v10, v48, v10, -v11
	;; [unrolled: 1-line block ×3, first 2 shown]
	v_mul_f32_e32 v9, v50, v43
	v_mul_f32_e32 v11, v51, v41
	;; [unrolled: 1-line block ×3, first 2 shown]
	v_fma_f32 v29, v45, v34, -v29
	v_fma_f32 v9, v46, v42, -v9
	;; [unrolled: 1-line block ×4, first 2 shown]
	v_sub_f32_e32 v28, v38, v28
	v_sub_f32_e32 v36, v71, v29
	v_fma_f32 v34, v38, 2.0, -v28
	v_sub_f32_e32 v12, v39, v12
	v_sub_f32_e32 v10, v32, v10
	;; [unrolled: 1-line block ×6, first 2 shown]
	v_fma_f32 v29, v71, 2.0, -v36
	v_fma_f32 v35, v39, 2.0, -v12
	;; [unrolled: 1-line block ×7, first 2 shown]
	s_waitcnt lgkmcnt(0)
	; wave barrier
	s_waitcnt lgkmcnt(0)
	ds_write2_b32 v60, v34, v28 offset1:17
	ds_write2_b32 v61, v35, v12 offset1:17
	;; [unrolled: 1-line block ×8, first 2 shown]
	v_add_u32_e32 v28, 0x800, v75
	v_add_u32_e32 v29, 0x400, v75
	s_waitcnt lgkmcnt(0)
	; wave barrier
	s_waitcnt lgkmcnt(0)
	ds_read2_b32 v[10:11], v75 offset1:51
	ds_read2_b32 v[8:9], v78 offset0:76 offset1:144
	ds_read2_b32 v[34:35], v28 offset0:32 offset1:83
	;; [unrolled: 1-line block ×6, first 2 shown]
	ds_read_b32 v37, v75 offset:2992
                                        ; implicit-def: $vgpr38
	s_and_saveexec_b64 s[2:3], s[0:1]
	s_cbranch_execz .LBB0_19
; %bb.18:
	ds_read_b32 v36, v75 offset:1020
	ds_read_b32 v7, v75 offset:2108
	;; [unrolled: 1-line block ×3, first 2 shown]
.LBB0_19:
	s_or_b64 exec, exec, s[2:3]
	v_subrev_u32_e32 v39, 34, v2
	v_cmp_gt_u32_e64 s[2:3], 34, v2
	v_mov_b32_e32 v41, 0
	s_nop 0
	v_cndmask_b32_e64 v49, v39, v2, s[2:3]
	s_movk_i32 s2, 0xf1
	v_mul_lo_u16_sdwa v39, v70, s2 dst_sel:DWORD dst_unused:UNUSED_PAD src0_sel:BYTE_0 src1_sel:DWORD
	v_lshrrev_b16_e32 v64, 13, v39
	v_lshlrev_b32_e32 v40, 1, v49
	v_mul_lo_u16_e32 v39, 34, v64
	v_lshl_add_u64 v[44:45], v[40:41], 3, s[4:5]
	v_sub_u16_e32 v65, v70, v39
	v_mov_b32_e32 v39, 4
	v_lshlrev_b32_sdwa v46, v39, v65 dst_sel:DWORD dst_unused:UNUSED_PAD src0_sel:DWORD src1_sel:BYTE_0
	global_load_dwordx4 v[40:43], v[44:45], off offset:136
	global_load_dwordx4 v[50:53], v46, s[4:5] offset:136
	v_mul_lo_u16_sdwa v44, v69, s2 dst_sel:DWORD dst_unused:UNUSED_PAD src0_sel:BYTE_0 src1_sel:DWORD
	v_lshrrev_b16_e32 v71, 13, v44
	v_mul_lo_u16_sdwa v45, v68, s2 dst_sel:DWORD dst_unused:UNUSED_PAD src0_sel:BYTE_0 src1_sel:DWORD
	v_mul_lo_u16_e32 v44, 34, v71
	v_lshrrev_b16_e32 v73, 13, v45
	v_sub_u16_e32 v72, v69, v44
	v_mul_lo_u16_e32 v45, 34, v73
	v_lshlrev_b32_sdwa v44, v39, v72 dst_sel:DWORD dst_unused:UNUSED_PAD src0_sel:DWORD src1_sel:BYTE_0
	v_sub_u16_e32 v74, v68, v45
	v_lshlrev_b32_sdwa v45, v39, v74 dst_sel:DWORD dst_unused:UNUSED_PAD src0_sel:DWORD src1_sel:BYTE_0
	global_load_dwordx4 v[54:57], v44, s[4:5] offset:136
	global_load_dwordx4 v[60:63], v45, s[4:5] offset:136
	v_mul_lo_u16_sdwa v44, v67, s2 dst_sel:DWORD dst_unused:UNUSED_PAD src0_sel:BYTE_0 src1_sel:DWORD
	v_lshrrev_b16_e32 v84, 13, v44
	v_mul_lo_u16_e32 v44, 34, v84
	s_mov_b32 s2, 0xf0f1
	v_sub_u16_e32 v85, v67, v44
	v_mul_u32_u24_sdwa v44, v66, s2 dst_sel:DWORD dst_unused:UNUSED_PAD src0_sel:WORD_0 src1_sel:DWORD
	v_lshlrev_b32_sdwa v39, v39, v85 dst_sel:DWORD dst_unused:UNUSED_PAD src0_sel:DWORD src1_sel:BYTE_0
	v_lshrrev_b32_e32 v44, 21, v44
	global_load_dwordx4 v[76:79], v39, s[4:5] offset:136
	v_mul_lo_u16_e32 v39, 34, v44
	v_sub_u16_e32 v86, v66, v39
	v_lshlrev_b32_e32 v39, 4, v86
	global_load_dwordx4 v[80:83], v39, s[4:5] offset:136
	v_cmp_lt_u32_e64 s[2:3], 33, v2
	s_waitcnt lgkmcnt(0)
	; wave barrier
	s_waitcnt vmcnt(5) lgkmcnt(0)
	v_mul_f32_e32 v44, v9, v41
	v_mul_f32_e32 v39, v15, v41
	;; [unrolled: 1-line block ×4, first 2 shown]
	v_fmac_f32_e32 v44, v15, v40
	v_fma_f32 v47, v9, v40, -v39
	v_fmac_f32_e32 v46, v26, v42
	s_waitcnt vmcnt(4)
	v_mul_f32_e32 v43, v32, v51
	v_mul_f32_e32 v45, v35, v53
	v_fma_f32 v48, v34, v42, -v41
	v_mul_f32_e32 v51, v24, v51
	v_mul_f32_e32 v53, v27, v53
	s_waitcnt vmcnt(2)
	v_mul_f32_e32 v39, v28, v61
	v_mul_f32_e32 v61, v20, v61
	;; [unrolled: 1-line block ×4, first 2 shown]
	v_fmac_f32_e32 v43, v24, v50
	v_fmac_f32_e32 v45, v27, v52
	v_fmac_f32_e32 v39, v20, v60
	v_mul_f32_e32 v41, v33, v55
	v_mul_f32_e32 v42, v30, v57
	s_waitcnt vmcnt(1)
	v_mul_f32_e32 v15, v29, v77
	v_mul_f32_e32 v77, v21, v77
	v_fma_f32 v20, v29, v76, -v77
	v_add_f32_e32 v29, v44, v46
	s_waitcnt vmcnt(0)
	v_mul_f32_e32 v9, v7, v81
	v_mul_f32_e32 v81, v3, v81
	;; [unrolled: 1-line block ×3, first 2 shown]
	v_fma_f32 v32, v32, v50, -v51
	v_fma_f32 v27, v35, v52, -v53
	v_fmac_f32_e32 v40, v23, v62
	v_fma_f32 v23, v31, v62, -v63
	v_fmac_f32_e32 v9, v3, v80
	v_fma_f32 v3, v7, v80, -v81
	v_add_f32_e32 v7, v18, v44
	v_fma_f32 v18, -0.5, v29, v18
	v_sub_f32_e32 v29, v47, v48
	v_add_f32_e32 v31, v43, v45
	v_mul_f32_e32 v55, v25, v55
	v_fmac_f32_e32 v41, v25, v54
	v_fma_f32 v25, v30, v56, -v57
	v_fmamk_f32 v30, v29, 0xbf5db3d7, v18
	v_fmac_f32_e32 v18, 0x3f5db3d7, v29
	v_add_f32_e32 v29, v19, v43
	v_fmac_f32_e32 v19, -0.5, v31
	v_sub_f32_e32 v31, v32, v27
	v_mul_f32_e32 v26, v37, v79
	v_mul_f32_e32 v79, v58, v79
	v_fmac_f32_e32 v42, v22, v56
	v_fmamk_f32 v35, v31, 0xbf5db3d7, v19
	v_fmac_f32_e32 v19, 0x3f5db3d7, v31
	v_add_f32_e32 v31, v16, v41
	v_fma_f32 v24, v33, v54, -v55
	v_fmac_f32_e32 v15, v21, v76
	v_fma_f32 v21, v37, v78, -v79
	v_add_f32_e32 v37, v31, v42
	v_add_f32_e32 v31, v41, v42
	v_mul_f32_e32 v34, v38, v83
	v_mul_f32_e32 v83, v59, v83
	v_fma_f32 v16, -0.5, v31, v16
	v_sub_f32_e32 v31, v24, v25
	v_fma_f32 v22, v28, v60, -v61
	v_fma_f32 v28, v38, v82, -v83
	v_fmamk_f32 v38, v31, 0xbf5db3d7, v16
	v_fmac_f32_e32 v16, 0x3f5db3d7, v31
	v_add_f32_e32 v31, v17, v39
	v_add_f32_e32 v50, v31, v40
	;; [unrolled: 1-line block ×3, first 2 shown]
	v_fmac_f32_e32 v17, -0.5, v31
	v_sub_f32_e32 v31, v22, v23
	v_fmac_f32_e32 v26, v58, v78
	v_fmamk_f32 v51, v31, 0xbf5db3d7, v17
	v_fmac_f32_e32 v17, 0x3f5db3d7, v31
	v_add_f32_e32 v31, v14, v15
	v_add_f32_e32 v52, v31, v26
	;; [unrolled: 1-line block ×3, first 2 shown]
	v_fmac_f32_e32 v14, -0.5, v31
	v_sub_f32_e32 v31, v20, v21
	v_fmamk_f32 v53, v31, 0xbf5db3d7, v14
	v_fmac_f32_e32 v14, 0x3f5db3d7, v31
	v_mov_b32_e32 v31, 0x198
	v_cndmask_b32_e64 v31, 0, v31, s[2:3]
	v_lshlrev_b32_e32 v33, 2, v49
	v_add_f32_e32 v7, v7, v46
	v_add3_u32 v31, 0, v31, v33
	ds_write2_b32 v31, v7, v30 offset1:34
	ds_write_b32 v31, v18 offset:272
	v_mov_b32_e32 v18, 2
	v_mul_u32_u24_e32 v7, 0x198, v64
	v_lshlrev_b32_sdwa v30, v18, v65 dst_sel:DWORD dst_unused:UNUSED_PAD src0_sel:DWORD src1_sel:BYTE_0
	v_add_f32_e32 v29, v29, v45
	v_add3_u32 v33, 0, v7, v30
	ds_write2_b32 v33, v29, v35 offset1:34
	ds_write_b32 v33, v19 offset:272
	v_mul_u32_u24_e32 v7, 0x198, v71
	v_lshlrev_b32_sdwa v19, v18, v72 dst_sel:DWORD dst_unused:UNUSED_PAD src0_sel:DWORD src1_sel:BYTE_0
	v_add3_u32 v35, 0, v7, v19
	ds_write2_b32 v35, v37, v38 offset1:34
	ds_write_b32 v35, v16 offset:272
	v_mul_u32_u24_e32 v7, 0x198, v73
	v_lshlrev_b32_sdwa v16, v18, v74 dst_sel:DWORD dst_unused:UNUSED_PAD src0_sel:DWORD src1_sel:BYTE_0
	v_add3_u32 v37, 0, v7, v16
	v_mul_u32_u24_e32 v7, 0x198, v84
	v_lshlrev_b32_sdwa v16, v18, v85 dst_sel:DWORD dst_unused:UNUSED_PAD src0_sel:DWORD src1_sel:BYTE_0
	v_fmac_f32_e32 v34, v59, v82
	v_add3_u32 v38, 0, v7, v16
	v_lshl_add_u32 v29, v86, 2, 0
	ds_write2_b32 v37, v50, v51 offset1:34
	ds_write_b32 v37, v17 offset:272
	ds_write2_b32 v38, v52, v53 offset1:34
	ds_write_b32 v38, v14 offset:272
	s_and_saveexec_b64 s[2:3], s[0:1]
	s_cbranch_execz .LBB0_21
; %bb.20:
	v_add_f32_e32 v7, v9, v34
	v_fma_f32 v7, -0.5, v7, v5
	v_sub_f32_e32 v14, v3, v28
	v_add_f32_e32 v5, v5, v9
	v_fmamk_f32 v16, v14, 0x3f5db3d7, v7
	v_fmac_f32_e32 v7, 0xbf5db3d7, v14
	v_add_f32_e32 v5, v5, v34
	v_add_u32_e32 v14, 0x800, v29
	ds_write2_b32 v14, v5, v7 offset0:202 offset1:236
	ds_write_b32 v29, v16 offset:3128
.LBB0_21:
	s_or_b64 exec, exec, s[2:3]
	v_add_f32_e32 v5, v10, v47
	v_add_f32_e32 v49, v5, v48
	;; [unrolled: 1-line block ×3, first 2 shown]
	v_fma_f32 v47, -0.5, v5, v10
	v_sub_f32_e32 v5, v44, v46
	v_fmamk_f32 v44, v5, 0x3f5db3d7, v47
	v_fmac_f32_e32 v47, 0xbf5db3d7, v5
	v_add_f32_e32 v5, v11, v32
	v_add_f32_e32 v46, v5, v27
	;; [unrolled: 1-line block ×3, first 2 shown]
	v_fmac_f32_e32 v11, -0.5, v5
	v_sub_f32_e32 v5, v43, v45
	v_fmamk_f32 v32, v5, 0x3f5db3d7, v11
	v_fmac_f32_e32 v11, 0xbf5db3d7, v5
	v_add_f32_e32 v5, v12, v24
	v_add_f32_e32 v43, v5, v25
	;; [unrolled: 1-line block ×3, first 2 shown]
	v_fma_f32 v45, -0.5, v5, v12
	v_sub_f32_e32 v5, v41, v42
	v_fmamk_f32 v41, v5, 0x3f5db3d7, v45
	v_fmac_f32_e32 v45, 0xbf5db3d7, v5
	v_add_f32_e32 v5, v13, v22
	v_add_f32_e32 v42, v5, v23
	;; [unrolled: 1-line block ×3, first 2 shown]
	v_fmac_f32_e32 v13, -0.5, v5
	v_sub_f32_e32 v5, v39, v40
	v_fmamk_f32 v39, v5, 0x3f5db3d7, v13
	v_fmac_f32_e32 v13, 0xbf5db3d7, v5
	v_add_f32_e32 v5, v8, v20
	v_add_f32_e32 v40, v5, v21
	;; [unrolled: 1-line block ×3, first 2 shown]
	v_fmac_f32_e32 v8, -0.5, v5
	v_sub_f32_e32 v5, v15, v26
	v_fmamk_f32 v48, v5, 0x3f5db3d7, v8
	v_fmac_f32_e32 v8, 0xbf5db3d7, v5
	v_add_u32_e32 v5, 0x400, v75
	v_add_u32_e32 v7, 0x600, v75
	;; [unrolled: 1-line block ×3, first 2 shown]
	s_waitcnt lgkmcnt(0)
	; wave barrier
	s_waitcnt lgkmcnt(0)
	ds_read2_b32 v[22:23], v75 offset1:51
	ds_read2_b32 v[26:27], v5 offset0:152 offset1:203
	ds_read2_b32 v[20:21], v75 offset0:102 offset1:153
	;; [unrolled: 1-line block ×6, first 2 shown]
	ds_read_b32 v12, v90
	ds_read_b32 v10, v91
	s_waitcnt lgkmcnt(0)
	; wave barrier
	s_waitcnt lgkmcnt(0)
	ds_write2_b32 v31, v49, v44 offset1:34
	ds_write_b32 v31, v47 offset:272
	ds_write2_b32 v33, v46, v32 offset1:34
	ds_write_b32 v33, v11 offset:272
	;; [unrolled: 2-line block ×5, first 2 shown]
	s_and_saveexec_b64 s[2:3], s[0:1]
	s_cbranch_execz .LBB0_23
; %bb.22:
	v_add_f32_e32 v8, v36, v3
	v_add_f32_e32 v3, v3, v28
	v_fmac_f32_e32 v36, -0.5, v3
	v_sub_f32_e32 v3, v9, v34
	v_add_f32_e32 v8, v8, v28
	v_fmamk_f32 v9, v3, 0x3f5db3d7, v36
	v_add_u32_e32 v11, 0x800, v29
	v_fmamk_f32 v3, v3, 0xbf5db3d7, v36
	ds_write2_b32 v11, v8, v9 offset0:202 offset1:236
	ds_write_b32 v29, v3 offset:3128
.LBB0_23:
	s_or_b64 exec, exec, s[2:3]
	s_movk_i32 s0, 0xa1
	v_mov_b32_e32 v3, 0
	s_mov_b32 s1, 0xa0a1
	v_mul_lo_u16_sdwa v11, v67, s0 dst_sel:DWORD dst_unused:UNUSED_PAD src0_sel:BYTE_0 src1_sel:DWORD
	v_lshl_add_u64 v[8:9], v[2:3], 3, s[4:5]
	v_mul_u32_u24_sdwa v13, v66, s1 dst_sel:DWORD dst_unused:UNUSED_PAD src0_sel:WORD_0 src1_sel:DWORD
	v_mul_u32_u24_sdwa v31, v4, s1 dst_sel:DWORD dst_unused:UNUSED_PAD src0_sel:WORD_0 src1_sel:DWORD
	;; [unrolled: 1-line block ×3, first 2 shown]
	v_lshrrev_b16_e32 v11, 14, v11
	s_waitcnt lgkmcnt(0)
	; wave barrier
	s_waitcnt lgkmcnt(0)
	global_load_dwordx2 v[28:29], v[8:9], off offset:680
	global_load_dwordx2 v[32:33], v[8:9], off offset:1088
	v_lshrrev_b32_e32 v13, 22, v13
	v_lshrrev_b32_e32 v31, 22, v31
	;; [unrolled: 1-line block ×3, first 2 shown]
	v_mul_lo_u16_e32 v11, 0x66, v11
	v_mul_lo_u16_e32 v13, 0x66, v13
	;; [unrolled: 1-line block ×4, first 2 shown]
	v_sub_u16_e32 v11, v67, v11
	v_sub_u16_e32 v13, v66, v13
	;; [unrolled: 1-line block ×4, first 2 shown]
	v_and_b32_e32 v11, 0xff, v11
	v_lshlrev_b32_e32 v34, 3, v31
	v_lshlrev_b32_e32 v36, 3, v56
	;; [unrolled: 1-line block ×4, first 2 shown]
	global_load_dwordx2 v[34:35], v34, s[4:5] offset:680
	v_lshl_add_u32 v11, v11, 2, 0
	global_load_dwordx2 v[36:37], v36, s[4:5] offset:680
	s_waitcnt vmcnt(3)
	v_mul_f32_e32 v60, v26, v29
	global_load_dwordx2 v[38:39], v38, s[4:5] offset:680
	s_waitcnt vmcnt(3)
	v_mul_f32_e32 v62, v27, v33
	global_load_dwordx2 v[40:41], v40, s[4:5] offset:680
	ds_read2_b32 v[42:43], v75 offset1:51
	ds_read2_b32 v[44:45], v5 offset0:152 offset1:203
	ds_read2_b32 v[46:47], v75 offset0:102 offset1:153
	;; [unrolled: 1-line block ×6, first 2 shown]
	ds_read_b32 v57, v90
	ds_read_b32 v58, v91
	s_waitcnt lgkmcnt(7)
	v_mul_f32_e32 v59, v44, v29
	v_mul_f32_e32 v61, v45, v33
	s_waitcnt lgkmcnt(5)
	v_mul_f32_e32 v63, v48, v29
	v_mul_f32_e32 v29, v24, v29
	;; [unrolled: 1-line block ×3, first 2 shown]
	v_fmac_f32_e32 v59, v26, v28
	v_fmac_f32_e32 v61, v27, v32
	v_mul_f32_e32 v33, v25, v33
	v_fma_f32 v26, v44, v28, -v60
	v_fmac_f32_e32 v63, v24, v28
	v_fma_f32 v24, v48, v28, -v29
	v_fmac_f32_e32 v64, v25, v32
	v_sub_f32_e32 v28, v22, v59
	v_sub_f32_e32 v29, v23, v61
	v_fma_f32 v27, v45, v32, -v62
	v_fma_f32 v25, v49, v32, -v33
	v_sub_f32_e32 v32, v20, v63
	v_sub_f32_e32 v24, v46, v24
	;; [unrolled: 1-line block ×3, first 2 shown]
	v_fma_f32 v22, v22, 2.0, -v28
	v_fma_f32 v23, v23, 2.0, -v29
	;; [unrolled: 1-line block ×5, first 2 shown]
	s_waitcnt vmcnt(3) lgkmcnt(2)
	v_mul_f32_e32 v45, v54, v35
	v_mul_f32_e32 v35, v18, v35
	s_waitcnt vmcnt(2)
	v_mul_f32_e32 v46, v55, v37
	s_waitcnt lgkmcnt(0)
	; wave barrier
	s_waitcnt lgkmcnt(0)
	ds_write2_b32 v75, v22, v23 offset1:51
	ds_write2_b32 v75, v28, v29 offset0:102 offset1:153
	ds_write2_b32 v75, v20, v21 offset0:204 offset1:255
	;; [unrolled: 1-line block ×3, first 2 shown]
	v_add_u32_e32 v28, 0x400, v11
	v_lshl_add_u32 v11, v13, 2, 0
	v_mul_f32_e32 v37, v19, v37
	v_fmac_f32_e32 v45, v18, v34
	v_fma_f32 v18, v54, v34, -v35
	v_fmac_f32_e32 v46, v19, v36
	v_add_u32_e32 v29, 0x400, v11
	v_lshl_add_u32 v11, v31, 2, 0
	v_sub_f32_e32 v26, v42, v26
	v_sub_f32_e32 v27, v43, v27
	v_fma_f32 v19, v55, v36, -v37
	v_add_u32_e32 v31, 0x800, v11
	v_lshl_add_u32 v11, v56, 2, 0
	v_sub_f32_e32 v25, v47, v25
	v_fma_f32 v42, v42, 2.0, -v26
	v_fma_f32 v43, v43, 2.0, -v27
	v_add_u32_e32 v32, 0x800, v11
	v_fma_f32 v34, v47, 2.0, -v25
	s_waitcnt vmcnt(1)
	v_mul_f32_e32 v48, v52, v39
	v_mul_f32_e32 v39, v16, v39
	s_waitcnt vmcnt(0)
	v_mul_f32_e32 v49, v53, v41
	v_mul_f32_e32 v41, v17, v41
	v_fmac_f32_e32 v48, v16, v38
	v_fma_f32 v16, v52, v38, -v39
	v_fmac_f32_e32 v49, v17, v40
	v_fma_f32 v17, v53, v40, -v41
	v_sub_f32_e32 v35, v14, v48
	v_sub_f32_e32 v36, v50, v16
	;; [unrolled: 1-line block ×7, first 2 shown]
	v_fma_f32 v14, v14, 2.0, -v35
	v_fma_f32 v15, v15, 2.0, -v16
	;; [unrolled: 1-line block ×3, first 2 shown]
	v_sub_f32_e32 v45, v58, v19
	v_fma_f32 v10, v10, 2.0, -v18
	v_fma_f32 v37, v50, 2.0, -v36
	;; [unrolled: 1-line block ×5, first 2 shown]
	ds_write2_b32 v28, v14, v35 offset0:152 offset1:254
	ds_write2_b32 v29, v15, v16 offset0:152 offset1:254
	ds_write2_b32 v31, v12, v17 offset0:100 offset1:202
	ds_write2_b32 v32, v10, v18 offset0:100 offset1:202
	s_waitcnt lgkmcnt(0)
	; wave barrier
	s_waitcnt lgkmcnt(0)
	ds_read2_b32 v[10:11], v75 offset1:51
	ds_read2_b32 v[12:13], v5 offset0:152 offset1:203
	ds_read2_b32 v[14:15], v75 offset0:102 offset1:153
	;; [unrolled: 1-line block ×6, first 2 shown]
	ds_read_b32 v48, v90
	ds_read_b32 v49, v91
	s_waitcnt lgkmcnt(0)
	; wave barrier
	s_waitcnt lgkmcnt(0)
	ds_write2_b32 v75, v42, v43 offset1:51
	ds_write2_b32 v75, v26, v27 offset0:102 offset1:153
	ds_write2_b32 v75, v44, v34 offset0:204 offset1:255
	;; [unrolled: 1-line block ×7, first 2 shown]
	s_waitcnt lgkmcnt(0)
	; wave barrier
	s_waitcnt lgkmcnt(0)
	global_load_dwordx2 v[24:25], v[8:9], off offset:1496
	global_load_dwordx2 v[26:27], v[8:9], off offset:1904
	global_load_dwordx2 v[28:29], v[8:9], off offset:2312
	global_load_dwordx2 v[32:33], v[8:9], off offset:2720
	ds_read2_b32 v[34:35], v75 offset1:51
	ds_read2_b32 v[36:37], v5 offset0:152 offset1:203
	ds_read2_b32 v[38:39], v75 offset0:102 offset1:153
	;; [unrolled: 1-line block ×6, first 2 shown]
	ds_read_b32 v31, v90
	ds_read_b32 v50, v91
	s_waitcnt lgkmcnt(0)
	; wave barrier
	s_waitcnt vmcnt(3) lgkmcnt(0)
	v_mul_f32_e32 v51, v36, v25
	v_mul_f32_e32 v52, v12, v25
	v_fmac_f32_e32 v51, v12, v24
	v_fma_f32 v12, v36, v24, -v52
	v_mul_f32_e32 v36, v44, v25
	v_fmac_f32_e32 v36, v20, v24
	v_mul_f32_e32 v20, v20, v25
	v_fma_f32 v20, v44, v24, -v20
	s_waitcnt vmcnt(2)
	v_mul_f32_e32 v24, v45, v27
	v_mul_f32_e32 v53, v37, v27
	;; [unrolled: 1-line block ×3, first 2 shown]
	v_fmac_f32_e32 v24, v21, v26
	v_mul_f32_e32 v21, v21, v27
	s_waitcnt vmcnt(0)
	v_mul_f32_e32 v57, v41, v33
	v_fmac_f32_e32 v53, v13, v26
	v_fma_f32 v13, v37, v26, -v54
	v_fma_f32 v21, v45, v26, -v21
	v_mul_f32_e32 v26, v47, v33
	v_mul_f32_e32 v55, v40, v29
	v_fmac_f32_e32 v57, v17, v32
	v_mul_f32_e32 v17, v17, v33
	v_mul_f32_e32 v25, v46, v29
	v_fmac_f32_e32 v26, v23, v32
	;; [unrolled: 3-line block ×3, first 2 shown]
	v_fma_f32 v17, v41, v32, -v17
	v_fmac_f32_e32 v25, v22, v28
	v_mul_f32_e32 v22, v22, v29
	v_fma_f32 v23, v47, v32, -v23
	v_sub_f32_e32 v32, v34, v12
	v_fma_f32 v16, v40, v28, -v56
	v_fma_f32 v22, v46, v28, -v22
	v_sub_f32_e32 v27, v10, v51
	v_fma_f32 v33, v34, 2.0, -v32
	v_sub_f32_e32 v12, v11, v53
	v_sub_f32_e32 v34, v35, v13
	;; [unrolled: 1-line block ×10, first 2 shown]
	v_fma_f32 v10, v10, 2.0, -v27
	v_fma_f32 v11, v11, 2.0, -v12
	v_sub_f32_e32 v37, v38, v16
	v_fma_f32 v14, v14, 2.0, -v13
	v_sub_f32_e32 v16, v15, v57
	v_fma_f32 v18, v18, 2.0, -v17
	v_fma_f32 v41, v42, 2.0, -v36
	;; [unrolled: 1-line block ×4, first 2 shown]
	v_sub_f32_e32 v25, v31, v22
	v_fma_f32 v22, v48, 2.0, -v21
	v_sub_f32_e32 v43, v50, v23
	v_fma_f32 v23, v49, 2.0, -v26
	v_fma_f32 v15, v15, 2.0, -v16
	ds_write2_b32 v75, v10, v11 offset1:51
	ds_write2_b32 v75, v27, v12 offset0:204 offset1:255
	ds_write2_b32 v75, v14, v15 offset0:102 offset1:153
	;; [unrolled: 1-line block ×7, first 2 shown]
	s_waitcnt lgkmcnt(0)
	; wave barrier
	s_waitcnt lgkmcnt(0)
	ds_read2_b32 v[28:29], v75 offset1:51
	ds_read2_b32 v[26:27], v5 offset0:152 offset1:203
	ds_read2_b32 v[20:21], v75 offset0:102 offset1:153
	ds_read2_b32 v[22:23], v7 offset0:126 offset1:177
	ds_read2_b32 v[16:17], v75 offset0:204 offset1:255
	ds_read2_b32 v[18:19], v30 offset0:100 offset1:151
	ds_read2_b32 v[12:13], v30 offset0:202 offset1:253
	ds_read_b32 v14, v90
	ds_read_b32 v10, v91
	v_fma_f32 v35, v35, 2.0, -v34
	v_fma_f32 v38, v38, 2.0, -v37
	;; [unrolled: 1-line block ×5, first 2 shown]
	s_waitcnt lgkmcnt(0)
	; wave barrier
	s_waitcnt lgkmcnt(0)
	ds_write2_b32 v75, v33, v35 offset1:51
	ds_write2_b32 v75, v32, v34 offset0:204 offset1:255
	ds_write2_b32 v75, v38, v39 offset0:102 offset1:153
	;; [unrolled: 1-line block ×7, first 2 shown]
	s_waitcnt lgkmcnt(0)
	; wave barrier
	s_waitcnt lgkmcnt(0)
	s_and_saveexec_b64 s[0:1], vcc
	s_cbranch_execz .LBB0_25
; %bb.24:
	global_load_dwordx2 v[30:31], v[8:9], off offset:3128
	global_load_dwordx2 v[32:33], v[8:9], off offset:3536
	ds_read_b32 v11, v91
	ds_read_b32 v15, v90
	ds_read2_b32 v[24:25], v75 offset0:204 offset1:255
	ds_read2_b32 v[34:35], v75 offset0:102 offset1:153
	global_load_dwordx2 v[40:41], v[8:9], off offset:3944
	s_mov_b64 s[0:1], 0x4c8
	v_mov_b32_e32 v7, v3
	v_add_u32_e32 v43, 0x800, v75
	v_lshl_add_u64 v[50:51], v[8:9], 0, s[0:1]
	v_mov_b32_e32 v5, v3
	v_add_u32_e32 v3, 0x600, v75
	ds_read2_b32 v[36:37], v75 offset1:51
	v_add_u32_e32 v47, 0x400, v75
	v_lshl_add_u64 v[52:53], v[6:7], 3, s[4:5]
	ds_read2_b32 v[6:7], v43 offset0:202 offset1:253
	ds_read2_b32 v[54:55], v43 offset0:100 offset1:151
	;; [unrolled: 1-line block ×4, first 2 shown]
	global_load_dwordx2 v[50:51], v[50:51], off offset:3128
	v_mad_u64_u32 v[44:45], s[6:7], s8, v70, 0
	v_add_u32_e32 v75, 0x1cb, v2
	v_mov_b32_e32 v64, v45
	v_mad_u64_u32 v[72:73], s[0:1], s8, v75, 0
	v_mad_u64_u32 v[38:39], s[2:3], s8, v2, 0
	v_add_u32_e32 v71, 0x198, v2
	v_mad_u64_u32 v[64:65], s[0:1], s9, v70, v[64:65]
	v_mov_b32_e32 v70, v73
	s_movk_i32 s3, 0x1000
	v_mov_b32_e32 v60, v39
	v_mad_u64_u32 v[62:63], s[0:1], s8, v71, 0
	v_mov_b32_e32 v45, v64
	v_mad_u64_u32 v[64:65], s[0:1], s9, v75, v[70:71]
	v_add_co_u32_e32 v8, vcc, s3, v8
	v_mad_u64_u32 v[60:61], s[0:1], s9, v2, v[60:61]
	v_mov_b32_e32 v76, v63
	v_mov_b32_e32 v73, v64
	s_waitcnt lgkmcnt(0)
	v_mov_b32_e32 v64, v59
	v_mov_b32_e32 v42, v28
	;; [unrolled: 1-line block ×4, first 2 shown]
	v_addc_co_u32_e32 v9, vcc, 0, v9, vcc
	v_mov_b32_e32 v39, v60
	v_mad_u64_u32 v[60:61], s[0:1], s9, v71, v[76:77]
	v_mov_b32_e32 v43, v36
	v_mov_b32_e32 v36, v29
	v_lshl_add_u64 v[38:39], v[38:39], 3, v[0:1]
	v_mov_b32_e32 v63, v60
	v_add_u32_e32 v3, 0x1fe, v2
	v_lshl_add_u64 v[44:45], v[44:45], 3, v[0:1]
	v_lshl_add_u64 v[60:61], v[62:63], 3, v[0:1]
	;; [unrolled: 1-line block ×3, first 2 shown]
	v_mad_u64_u32 v[48:49], s[6:7], s8, v69, 0
	v_mov_b32_e32 v74, v49
	v_lshl_add_u64 v[4:5], v[4:5], 3, s[4:5]
	s_mov_b32 s3, 0xa0a0a0a1
	s_movk_i32 s2, 0x198
	s_waitcnt vmcnt(3)
	v_pk_mul_f32 v[58:59], v[30:31], v[58:59] op_sel_hi:[1,0]
	s_nop 0
	v_pk_fma_f32 v[70:71], v[26:27], v[30:31], v[58:59] op_sel:[0,0,1] op_sel_hi:[1,1,0]
	v_pk_fma_f32 v[26:27], v[26:27], v[30:31], v[58:59] op_sel:[0,0,1] op_sel_hi:[0,1,0] neg_lo:[1,0,0] neg_hi:[1,0,0]
	v_mov_b32_e32 v71, v27
	global_load_dwordx2 v[26:27], v[8:9], off offset:664
	s_waitcnt vmcnt(3)
	v_pk_mul_f32 v[64:65], v[32:33], v[64:65] op_sel_hi:[1,0]
	s_nop 0
	v_pk_fma_f32 v[28:29], v[28:29], v[32:33], v[64:65] op_sel:[0,0,1] op_sel_hi:[1,1,0]
	v_pk_fma_f32 v[30:31], v[46:47], v[32:33], v[64:65] op_sel:[0,0,1] op_sel_hi:[0,1,0] neg_lo:[1,0,0] neg_hi:[1,0,0]
	v_mov_b32_e32 v29, v31
	v_pk_add_f32 v[30:31], v[42:43], v[70:71] neg_lo:[0,1] neg_hi:[0,1]
	v_pk_add_f32 v[28:29], v[36:37], v[28:29] neg_lo:[0,1] neg_hi:[0,1]
	v_pk_fma_f32 v[32:33], v[42:43], 2.0, v[30:31] op_sel_hi:[1,0,1] neg_lo:[0,0,1] neg_hi:[0,0,1]
	v_pk_fma_f32 v[36:37], v[36:37], 2.0, v[28:29] op_sel_hi:[1,0,1] neg_lo:[0,0,1] neg_hi:[0,0,1]
	global_store_dwordx2 v[38:39], v[32:33], off
	global_store_dwordx2 v[60:61], v[30:31], off
	;; [unrolled: 1-line block ×4, first 2 shown]
	v_mad_u64_u32 v[30:31], s[0:1], s8, v3, 0
	v_mov_b32_e32 v32, v31
	v_mad_u64_u32 v[32:33], s[0:1], s9, v3, v[32:33]
	v_mov_b32_e32 v31, v32
	s_waitcnt vmcnt(6)
	v_pk_mul_f32 v[32:33], v[40:41], v[56:57] op_sel_hi:[1,0]
	global_load_dwordx2 v[8:9], v[8:9], off offset:1072
	v_pk_fma_f32 v[36:37], v[22:23], v[40:41], v[32:33] op_sel:[0,0,1] op_sel_hi:[1,1,0]
	global_load_dwordx2 v[4:5], v[4:5], off offset:3128
	v_pk_fma_f32 v[32:33], v[22:23], v[40:41], v[32:33] op_sel:[0,0,1] op_sel_hi:[0,1,0] neg_lo:[1,0,0] neg_hi:[1,0,0]
	v_mad_u64_u32 v[28:29], s[0:1], s9, v69, v[74:75]
	v_mov_b32_e32 v37, v33
	v_mov_b32_e32 v32, v20
	;; [unrolled: 1-line block ×4, first 2 shown]
	v_pk_add_f32 v[36:37], v[32:33], v[36:37] neg_lo:[0,1] neg_hi:[0,1]
	v_lshl_add_u64 v[28:29], v[48:49], 3, v[0:1]
	v_pk_fma_f32 v[32:33], v[32:33], 2.0, v[36:37] op_sel_hi:[1,0,1] neg_lo:[0,0,1] neg_hi:[0,0,1]
	global_store_dwordx2 v[28:29], v[32:33], off
	v_mad_u64_u32 v[28:29], s[0:1], s8, v68, 0
	v_lshl_add_u64 v[30:31], v[30:31], 3, v[0:1]
	v_mov_b32_e32 v20, v29
	global_store_dwordx2 v[30:31], v[36:37], off
	v_mad_u64_u32 v[30:31], s[0:1], s9, v68, v[20:21]
	v_add_u32_e32 v3, 0x231, v2
	v_mov_b32_e32 v29, v30
	v_mad_u64_u32 v[30:31], s[0:1], s8, v3, 0
	v_mov_b32_e32 v20, v31
	v_mad_u64_u32 v[32:33], s[0:1], s9, v3, v[20:21]
	v_mov_b32_e32 v22, v57
	v_mov_b32_e32 v31, v32
	;; [unrolled: 1-line block ×3, first 2 shown]
	s_waitcnt vmcnt(9)
	v_pk_mul_f32 v[32:33], v[50:51], v[22:23] op_sel_hi:[1,0]
	v_mov_b32_e32 v34, v21
	v_pk_fma_f32 v[36:37], v[20:21], v[50:51], v[32:33] op_sel:[0,0,1] op_sel_hi:[1,1,0]
	v_pk_fma_f32 v[22:23], v[20:21], v[50:51], v[32:33] op_sel:[0,0,1] op_sel_hi:[0,1,0] neg_lo:[1,0,0] neg_hi:[1,0,0]
	v_mov_b32_e32 v37, v23
	v_mul_hi_u32 v3, v67, s3
	v_pk_add_f32 v[20:21], v[34:35], v[36:37] neg_lo:[0,1] neg_hi:[0,1]
	v_lshrrev_b32_e32 v3, 8, v3
	v_lshl_add_u64 v[28:29], v[28:29], 3, v[0:1]
	v_pk_fma_f32 v[22:23], v[34:35], 2.0, v[20:21] op_sel_hi:[1,0,1] neg_lo:[0,0,1] neg_hi:[0,0,1]
	v_mad_u32_u24 v3, v3, s2, v67
	v_lshl_add_u64 v[30:31], v[30:31], 3, v[0:1]
	global_store_dwordx2 v[28:29], v[22:23], off
	global_store_dwordx2 v[30:31], v[20:21], off
	v_mad_u64_u32 v[20:21], s[0:1], s8, v3, 0
	v_mov_b32_e32 v22, v21
	v_mad_u64_u32 v[22:23], s[0:1], s9, v3, v[22:23]
	v_add_u32_e32 v3, 0x198, v3
	v_mov_b32_e32 v21, v22
	v_mad_u64_u32 v[22:23], s[0:1], s8, v3, 0
	v_mov_b32_e32 v28, v23
	v_mad_u64_u32 v[28:29], s[0:1], s9, v3, v[28:29]
	v_mov_b32_e32 v23, v28
	v_mul_hi_u32 v3, v66, s3
	v_lshrrev_b32_e32 v3, 8, v3
	v_lshl_add_u64 v[20:21], v[20:21], 3, v[0:1]
	v_mad_u32_u24 v3, v3, s2, v66
	v_lshl_add_u64 v[22:23], v[22:23], 3, v[0:1]
	s_waitcnt vmcnt(10)
	v_pk_mul_f32 v[28:29], v[26:27], v[54:55] op_sel_hi:[1,0]
	s_nop 0
	v_pk_fma_f32 v[30:31], v[18:19], v[26:27], v[28:29] op_sel:[0,0,1] op_sel_hi:[1,1,0]
	v_pk_fma_f32 v[26:27], v[18:19], v[26:27], v[28:29] op_sel:[0,0,1] op_sel_hi:[0,1,0] neg_lo:[1,0,0] neg_hi:[1,0,0]
	global_load_dwordx2 v[28:29], v[52:53], off offset:3128
	v_mov_b32_e32 v31, v27
	v_mov_b32_e32 v26, v16
	;; [unrolled: 1-line block ×3, first 2 shown]
	v_pk_add_f32 v[30:31], v[26:27], v[30:31] neg_lo:[0,1] neg_hi:[0,1]
	v_mov_b32_e32 v18, v55
	v_pk_fma_f32 v[26:27], v[26:27], 2.0, v[30:31] op_sel_hi:[1,0,1] neg_lo:[0,0,1] neg_hi:[0,0,1]
	global_store_dwordx2 v[20:21], v[26:27], off
	global_store_dwordx2 v[22:23], v[30:31], off
	v_mad_u64_u32 v[20:21], s[0:1], s8, v3, 0
	v_mov_b32_e32 v16, v21
	v_mad_u64_u32 v[22:23], s[0:1], s9, v3, v[16:17]
	v_add_u32_e32 v3, 0x198, v3
	v_mov_b32_e32 v21, v22
	v_mad_u64_u32 v[22:23], s[0:1], s8, v3, 0
	v_mov_b32_e32 v16, v23
	v_mad_u64_u32 v[26:27], s[0:1], s9, v3, v[16:17]
	v_mov_b32_e32 v23, v26
	v_mov_b32_e32 v16, v19
	s_waitcnt vmcnt(8)
	v_pk_mul_f32 v[26:27], v[8:9], v[18:19] op_sel_hi:[1,0]
	v_mov_b32_e32 v24, v17
	v_pk_fma_f32 v[30:31], v[16:17], v[8:9], v[26:27] op_sel:[0,0,1] op_sel_hi:[1,1,0]
	v_pk_fma_f32 v[8:9], v[16:17], v[8:9], v[26:27] op_sel:[0,0,1] op_sel_hi:[0,1,0] neg_lo:[1,0,0] neg_hi:[1,0,0]
	v_mov_b32_e32 v31, v9
	v_pk_add_f32 v[8:9], v[24:25], v[30:31] neg_lo:[0,1] neg_hi:[0,1]
	v_lshl_add_u64 v[20:21], v[20:21], 3, v[0:1]
	v_pk_fma_f32 v[16:17], v[24:25], 2.0, v[8:9] op_sel_hi:[1,0,1] neg_lo:[0,0,1] neg_hi:[0,0,1]
	v_add_u32_e32 v3, 0x132, v2
	v_lshl_add_u64 v[22:23], v[22:23], 3, v[0:1]
	global_store_dwordx2 v[20:21], v[16:17], off
	global_store_dwordx2 v[22:23], v[8:9], off
	v_mad_u64_u32 v[8:9], s[0:1], s8, v3, 0
	v_mov_b32_e32 v16, v9
	v_mad_u64_u32 v[16:17], s[0:1], s9, v3, v[16:17]
	v_add_u32_e32 v3, 0x2ca, v2
	v_mov_b32_e32 v9, v16
	v_mad_u64_u32 v[16:17], s[0:1], s8, v3, 0
	v_mov_b32_e32 v18, v17
	v_mad_u64_u32 v[18:19], s[0:1], s9, v3, v[18:19]
	v_mov_b32_e32 v17, v18
	s_waitcnt vmcnt(9)
	v_pk_mul_f32 v[18:19], v[4:5], v[6:7] op_sel_hi:[1,0]
	v_add_u32_e32 v2, 0x165, v2
	v_pk_fma_f32 v[20:21], v[12:13], v[4:5], v[18:19] op_sel:[0,0,1] op_sel_hi:[1,1,0]
	v_pk_fma_f32 v[4:5], v[12:13], v[4:5], v[18:19] op_sel:[0,0,1] op_sel_hi:[0,1,0] neg_lo:[1,0,0] neg_hi:[1,0,0]
	v_mul_hi_u32 v3, v2, s3
	v_mov_b32_e32 v21, v5
	v_lshrrev_b32_e32 v3, 8, v3
	v_pk_add_f32 v[4:5], v[14:15], v[20:21] neg_lo:[0,1] neg_hi:[0,1]
	v_mad_u32_u24 v6, v3, s2, v2
	v_lshl_add_u64 v[8:9], v[8:9], 3, v[0:1]
	v_pk_fma_f32 v[14:15], v[14:15], 2.0, v[4:5] op_sel_hi:[1,0,1] neg_lo:[0,0,1] neg_hi:[0,0,1]
	v_mad_u64_u32 v[2:3], s[0:1], s8, v6, 0
	v_lshl_add_u64 v[16:17], v[16:17], 3, v[0:1]
	global_store_dwordx2 v[8:9], v[14:15], off
	global_store_dwordx2 v[16:17], v[4:5], off
	v_mov_b32_e32 v4, v3
	v_mad_u64_u32 v[4:5], s[0:1], s9, v6, v[4:5]
	v_add_u32_e32 v8, 0x198, v6
	v_mov_b32_e32 v3, v4
	v_mad_u64_u32 v[4:5], s[0:1], s8, v8, 0
	v_mov_b32_e32 v6, v5
	v_mad_u64_u32 v[8:9], s[0:1], s9, v8, v[6:7]
	v_mov_b32_e32 v5, v8
	v_mov_b32_e32 v6, v7
	v_lshl_add_u64 v[2:3], v[2:3], 3, v[0:1]
	v_lshl_add_u64 v[0:1], v[4:5], 3, v[0:1]
	v_mov_b32_e32 v4, v13
	v_mov_b32_e32 v8, v13
	s_waitcnt vmcnt(6)
	v_pk_mul_f32 v[6:7], v[28:29], v[6:7] op_sel_hi:[1,0]
	s_nop 0
	v_pk_fma_f32 v[4:5], v[4:5], v[28:29], v[6:7] op_sel:[0,0,1] op_sel_hi:[1,1,0]
	v_pk_fma_f32 v[6:7], v[8:9], v[28:29], v[6:7] op_sel:[0,0,1] op_sel_hi:[0,1,0] neg_lo:[1,0,0] neg_hi:[1,0,0]
	v_mov_b32_e32 v5, v7
	v_pk_add_f32 v[4:5], v[10:11], v[4:5] neg_lo:[0,1] neg_hi:[0,1]
	s_nop 0
	v_pk_fma_f32 v[6:7], v[10:11], 2.0, v[4:5] op_sel_hi:[1,0,1] neg_lo:[0,0,1] neg_hi:[0,0,1]
	global_store_dwordx2 v[2:3], v[6:7], off
	global_store_dwordx2 v[0:1], v[4:5], off
.LBB0_25:
	s_endpgm
	.section	.rodata,"a",@progbits
	.p2align	6, 0x0
	.amdhsa_kernel fft_rtc_back_len816_factors_17_2_3_2_2_2_wgs_51_tpt_51_halfLds_sp_ip_CI_sbrr_dirReg
		.amdhsa_group_segment_fixed_size 0
		.amdhsa_private_segment_fixed_size 0
		.amdhsa_kernarg_size 88
		.amdhsa_user_sgpr_count 2
		.amdhsa_user_sgpr_dispatch_ptr 0
		.amdhsa_user_sgpr_queue_ptr 0
		.amdhsa_user_sgpr_kernarg_segment_ptr 1
		.amdhsa_user_sgpr_dispatch_id 0
		.amdhsa_user_sgpr_kernarg_preload_length 0
		.amdhsa_user_sgpr_kernarg_preload_offset 0
		.amdhsa_user_sgpr_private_segment_size 0
		.amdhsa_uses_dynamic_stack 0
		.amdhsa_enable_private_segment 0
		.amdhsa_system_sgpr_workgroup_id_x 1
		.amdhsa_system_sgpr_workgroup_id_y 0
		.amdhsa_system_sgpr_workgroup_id_z 0
		.amdhsa_system_sgpr_workgroup_info 0
		.amdhsa_system_vgpr_workitem_id 0
		.amdhsa_next_free_vgpr 123
		.amdhsa_next_free_sgpr 76
		.amdhsa_accum_offset 124
		.amdhsa_reserve_vcc 1
		.amdhsa_float_round_mode_32 0
		.amdhsa_float_round_mode_16_64 0
		.amdhsa_float_denorm_mode_32 3
		.amdhsa_float_denorm_mode_16_64 3
		.amdhsa_dx10_clamp 1
		.amdhsa_ieee_mode 1
		.amdhsa_fp16_overflow 0
		.amdhsa_tg_split 0
		.amdhsa_exception_fp_ieee_invalid_op 0
		.amdhsa_exception_fp_denorm_src 0
		.amdhsa_exception_fp_ieee_div_zero 0
		.amdhsa_exception_fp_ieee_overflow 0
		.amdhsa_exception_fp_ieee_underflow 0
		.amdhsa_exception_fp_ieee_inexact 0
		.amdhsa_exception_int_div_zero 0
	.end_amdhsa_kernel
	.text
.Lfunc_end0:
	.size	fft_rtc_back_len816_factors_17_2_3_2_2_2_wgs_51_tpt_51_halfLds_sp_ip_CI_sbrr_dirReg, .Lfunc_end0-fft_rtc_back_len816_factors_17_2_3_2_2_2_wgs_51_tpt_51_halfLds_sp_ip_CI_sbrr_dirReg
                                        ; -- End function
	.section	.AMDGPU.csdata,"",@progbits
; Kernel info:
; codeLenInByte = 13012
; NumSgprs: 82
; NumVgprs: 123
; NumAgprs: 0
; TotalNumVgprs: 123
; ScratchSize: 0
; MemoryBound: 0
; FloatMode: 240
; IeeeMode: 1
; LDSByteSize: 0 bytes/workgroup (compile time only)
; SGPRBlocks: 10
; VGPRBlocks: 15
; NumSGPRsForWavesPerEU: 82
; NumVGPRsForWavesPerEU: 123
; AccumOffset: 124
; Occupancy: 4
; WaveLimiterHint : 1
; COMPUTE_PGM_RSRC2:SCRATCH_EN: 0
; COMPUTE_PGM_RSRC2:USER_SGPR: 2
; COMPUTE_PGM_RSRC2:TRAP_HANDLER: 0
; COMPUTE_PGM_RSRC2:TGID_X_EN: 1
; COMPUTE_PGM_RSRC2:TGID_Y_EN: 0
; COMPUTE_PGM_RSRC2:TGID_Z_EN: 0
; COMPUTE_PGM_RSRC2:TIDIG_COMP_CNT: 0
; COMPUTE_PGM_RSRC3_GFX90A:ACCUM_OFFSET: 30
; COMPUTE_PGM_RSRC3_GFX90A:TG_SPLIT: 0
	.text
	.p2alignl 6, 3212836864
	.fill 256, 4, 3212836864
	.type	__hip_cuid_636935c837fe92c3,@object ; @__hip_cuid_636935c837fe92c3
	.section	.bss,"aw",@nobits
	.globl	__hip_cuid_636935c837fe92c3
__hip_cuid_636935c837fe92c3:
	.byte	0                               ; 0x0
	.size	__hip_cuid_636935c837fe92c3, 1

	.ident	"AMD clang version 19.0.0git (https://github.com/RadeonOpenCompute/llvm-project roc-6.4.0 25133 c7fe45cf4b819c5991fe208aaa96edf142730f1d)"
	.section	".note.GNU-stack","",@progbits
	.addrsig
	.addrsig_sym __hip_cuid_636935c837fe92c3
	.amdgpu_metadata
---
amdhsa.kernels:
  - .agpr_count:     0
    .args:
      - .actual_access:  read_only
        .address_space:  global
        .offset:         0
        .size:           8
        .value_kind:     global_buffer
      - .offset:         8
        .size:           8
        .value_kind:     by_value
      - .actual_access:  read_only
        .address_space:  global
        .offset:         16
        .size:           8
        .value_kind:     global_buffer
      - .actual_access:  read_only
        .address_space:  global
        .offset:         24
        .size:           8
        .value_kind:     global_buffer
      - .offset:         32
        .size:           8
        .value_kind:     by_value
      - .actual_access:  read_only
        .address_space:  global
        .offset:         40
        .size:           8
        .value_kind:     global_buffer
      - .actual_access:  read_only
        .address_space:  global
        .offset:         48
        .size:           8
        .value_kind:     global_buffer
      - .offset:         56
        .size:           4
        .value_kind:     by_value
      - .actual_access:  read_only
        .address_space:  global
        .offset:         64
        .size:           8
        .value_kind:     global_buffer
      - .actual_access:  read_only
        .address_space:  global
        .offset:         72
        .size:           8
        .value_kind:     global_buffer
      - .address_space:  global
        .offset:         80
        .size:           8
        .value_kind:     global_buffer
    .group_segment_fixed_size: 0
    .kernarg_segment_align: 8
    .kernarg_segment_size: 88
    .language:       OpenCL C
    .language_version:
      - 2
      - 0
    .max_flat_workgroup_size: 51
    .name:           fft_rtc_back_len816_factors_17_2_3_2_2_2_wgs_51_tpt_51_halfLds_sp_ip_CI_sbrr_dirReg
    .private_segment_fixed_size: 0
    .sgpr_count:     82
    .sgpr_spill_count: 0
    .symbol:         fft_rtc_back_len816_factors_17_2_3_2_2_2_wgs_51_tpt_51_halfLds_sp_ip_CI_sbrr_dirReg.kd
    .uniform_work_group_size: 1
    .uses_dynamic_stack: false
    .vgpr_count:     123
    .vgpr_spill_count: 0
    .wavefront_size: 64
amdhsa.target:   amdgcn-amd-amdhsa--gfx950
amdhsa.version:
  - 1
  - 2
...

	.end_amdgpu_metadata
